;; amdgpu-corpus repo=ROCm/rocFFT kind=compiled arch=gfx1030 opt=O3
	.text
	.amdgcn_target "amdgcn-amd-amdhsa--gfx1030"
	.amdhsa_code_object_version 6
	.protected	fft_rtc_fwd_len1764_factors_2_2_3_3_7_7_wgs_126_tpt_126_halfLds_dp_op_CI_CI_sbrr_dirReg ; -- Begin function fft_rtc_fwd_len1764_factors_2_2_3_3_7_7_wgs_126_tpt_126_halfLds_dp_op_CI_CI_sbrr_dirReg
	.globl	fft_rtc_fwd_len1764_factors_2_2_3_3_7_7_wgs_126_tpt_126_halfLds_dp_op_CI_CI_sbrr_dirReg
	.p2align	8
	.type	fft_rtc_fwd_len1764_factors_2_2_3_3_7_7_wgs_126_tpt_126_halfLds_dp_op_CI_CI_sbrr_dirReg,@function
fft_rtc_fwd_len1764_factors_2_2_3_3_7_7_wgs_126_tpt_126_halfLds_dp_op_CI_CI_sbrr_dirReg: ; @fft_rtc_fwd_len1764_factors_2_2_3_3_7_7_wgs_126_tpt_126_halfLds_dp_op_CI_CI_sbrr_dirReg
; %bb.0:
	s_clause 0x2
	s_load_dwordx4 s[16:19], s[4:5], 0x18
	s_load_dwordx4 s[12:15], s[4:5], 0x0
	;; [unrolled: 1-line block ×3, first 2 shown]
	v_mul_u32_u24_e32 v2, 0x209, v0
	v_mov_b32_e32 v1, 0
	v_mov_b32_e32 v4, 0
	;; [unrolled: 1-line block ×3, first 2 shown]
	s_waitcnt lgkmcnt(0)
	s_load_dwordx2 s[20:21], s[16:17], 0x0
	s_load_dwordx2 s[2:3], s[18:19], 0x0
	v_cmp_lt_u64_e64 s0, s[14:15], 2
	v_add_nc_u32_sdwa v6, s6, v2 dst_sel:DWORD dst_unused:UNUSED_PAD src0_sel:DWORD src1_sel:WORD_1
	v_mov_b32_e32 v7, v1
	s_and_b32 vcc_lo, exec_lo, s0
	s_cbranch_vccnz .LBB0_8
; %bb.1:
	s_load_dwordx2 s[0:1], s[4:5], 0x10
	v_mov_b32_e32 v4, 0
	v_mov_b32_e32 v5, 0
	s_add_u32 s6, s18, 8
	s_addc_u32 s7, s19, 0
	s_add_u32 s22, s16, 8
	s_addc_u32 s23, s17, 0
	v_mov_b32_e32 v65, v5
	v_mov_b32_e32 v64, v4
	s_mov_b64 s[26:27], 1
	s_waitcnt lgkmcnt(0)
	s_add_u32 s24, s0, 8
	s_addc_u32 s25, s1, 0
.LBB0_2:                                ; =>This Inner Loop Header: Depth=1
	s_load_dwordx2 s[28:29], s[24:25], 0x0
                                        ; implicit-def: $vgpr66_vgpr67
	s_mov_b32 s0, exec_lo
	s_waitcnt lgkmcnt(0)
	v_or_b32_e32 v2, s29, v7
	v_cmpx_ne_u64_e32 0, v[1:2]
	s_xor_b32 s1, exec_lo, s0
	s_cbranch_execz .LBB0_4
; %bb.3:                                ;   in Loop: Header=BB0_2 Depth=1
	v_cvt_f32_u32_e32 v2, s28
	v_cvt_f32_u32_e32 v3, s29
	s_sub_u32 s0, 0, s28
	s_subb_u32 s30, 0, s29
	v_fmac_f32_e32 v2, 0x4f800000, v3
	v_rcp_f32_e32 v2, v2
	v_mul_f32_e32 v2, 0x5f7ffffc, v2
	v_mul_f32_e32 v3, 0x2f800000, v2
	v_trunc_f32_e32 v3, v3
	v_fmac_f32_e32 v2, 0xcf800000, v3
	v_cvt_u32_f32_e32 v3, v3
	v_cvt_u32_f32_e32 v2, v2
	v_mul_lo_u32 v8, s0, v3
	v_mul_hi_u32 v9, s0, v2
	v_mul_lo_u32 v10, s30, v2
	v_add_nc_u32_e32 v8, v9, v8
	v_mul_lo_u32 v9, s0, v2
	v_add_nc_u32_e32 v8, v8, v10
	v_mul_hi_u32 v10, v2, v9
	v_mul_lo_u32 v11, v2, v8
	v_mul_hi_u32 v12, v2, v8
	v_mul_hi_u32 v13, v3, v9
	v_mul_lo_u32 v9, v3, v9
	v_mul_hi_u32 v14, v3, v8
	v_mul_lo_u32 v8, v3, v8
	v_add_co_u32 v10, vcc_lo, v10, v11
	v_add_co_ci_u32_e32 v11, vcc_lo, 0, v12, vcc_lo
	v_add_co_u32 v9, vcc_lo, v10, v9
	v_add_co_ci_u32_e32 v9, vcc_lo, v11, v13, vcc_lo
	v_add_co_ci_u32_e32 v10, vcc_lo, 0, v14, vcc_lo
	v_add_co_u32 v8, vcc_lo, v9, v8
	v_add_co_ci_u32_e32 v9, vcc_lo, 0, v10, vcc_lo
	v_add_co_u32 v2, vcc_lo, v2, v8
	v_add_co_ci_u32_e32 v3, vcc_lo, v3, v9, vcc_lo
	v_mul_hi_u32 v8, s0, v2
	v_mul_lo_u32 v10, s30, v2
	v_mul_lo_u32 v9, s0, v3
	v_add_nc_u32_e32 v8, v8, v9
	v_mul_lo_u32 v9, s0, v2
	v_add_nc_u32_e32 v8, v8, v10
	v_mul_hi_u32 v10, v2, v9
	v_mul_lo_u32 v11, v2, v8
	v_mul_hi_u32 v12, v2, v8
	v_mul_hi_u32 v13, v3, v9
	v_mul_lo_u32 v9, v3, v9
	v_mul_hi_u32 v14, v3, v8
	v_mul_lo_u32 v8, v3, v8
	v_add_co_u32 v10, vcc_lo, v10, v11
	v_add_co_ci_u32_e32 v11, vcc_lo, 0, v12, vcc_lo
	v_add_co_u32 v9, vcc_lo, v10, v9
	v_add_co_ci_u32_e32 v9, vcc_lo, v11, v13, vcc_lo
	v_add_co_ci_u32_e32 v10, vcc_lo, 0, v14, vcc_lo
	v_add_co_u32 v8, vcc_lo, v9, v8
	v_add_co_ci_u32_e32 v9, vcc_lo, 0, v10, vcc_lo
	v_add_co_u32 v8, vcc_lo, v2, v8
	v_add_co_ci_u32_e32 v10, vcc_lo, v3, v9, vcc_lo
	v_mul_hi_u32 v12, v6, v8
	v_mad_u64_u32 v[8:9], null, v7, v8, 0
	v_mad_u64_u32 v[2:3], null, v6, v10, 0
	v_mad_u64_u32 v[10:11], null, v7, v10, 0
	v_add_co_u32 v2, vcc_lo, v12, v2
	v_add_co_ci_u32_e32 v3, vcc_lo, 0, v3, vcc_lo
	v_add_co_u32 v2, vcc_lo, v2, v8
	v_add_co_ci_u32_e32 v2, vcc_lo, v3, v9, vcc_lo
	v_add_co_ci_u32_e32 v3, vcc_lo, 0, v11, vcc_lo
	v_add_co_u32 v8, vcc_lo, v2, v10
	v_add_co_ci_u32_e32 v9, vcc_lo, 0, v3, vcc_lo
	v_mul_lo_u32 v10, s29, v8
	v_mad_u64_u32 v[2:3], null, s28, v8, 0
	v_mul_lo_u32 v11, s28, v9
	v_sub_co_u32 v2, vcc_lo, v6, v2
	v_add3_u32 v3, v3, v11, v10
	v_sub_nc_u32_e32 v10, v7, v3
	v_subrev_co_ci_u32_e64 v10, s0, s29, v10, vcc_lo
	v_add_co_u32 v11, s0, v8, 2
	v_add_co_ci_u32_e64 v12, s0, 0, v9, s0
	v_sub_co_u32 v13, s0, v2, s28
	v_sub_co_ci_u32_e32 v3, vcc_lo, v7, v3, vcc_lo
	v_subrev_co_ci_u32_e64 v10, s0, 0, v10, s0
	v_cmp_le_u32_e32 vcc_lo, s28, v13
	v_cmp_eq_u32_e64 s0, s29, v3
	v_cndmask_b32_e64 v13, 0, -1, vcc_lo
	v_cmp_le_u32_e32 vcc_lo, s29, v10
	v_cndmask_b32_e64 v14, 0, -1, vcc_lo
	v_cmp_le_u32_e32 vcc_lo, s28, v2
	;; [unrolled: 2-line block ×3, first 2 shown]
	v_cndmask_b32_e64 v15, 0, -1, vcc_lo
	v_cmp_eq_u32_e32 vcc_lo, s29, v10
	v_cndmask_b32_e64 v2, v15, v2, s0
	v_cndmask_b32_e32 v10, v14, v13, vcc_lo
	v_add_co_u32 v13, vcc_lo, v8, 1
	v_add_co_ci_u32_e32 v14, vcc_lo, 0, v9, vcc_lo
	v_cmp_ne_u32_e32 vcc_lo, 0, v10
	v_cndmask_b32_e32 v3, v14, v12, vcc_lo
	v_cndmask_b32_e32 v10, v13, v11, vcc_lo
	v_cmp_ne_u32_e32 vcc_lo, 0, v2
	v_cndmask_b32_e32 v67, v9, v3, vcc_lo
	v_cndmask_b32_e32 v66, v8, v10, vcc_lo
.LBB0_4:                                ;   in Loop: Header=BB0_2 Depth=1
	s_andn2_saveexec_b32 s0, s1
	s_cbranch_execz .LBB0_6
; %bb.5:                                ;   in Loop: Header=BB0_2 Depth=1
	v_cvt_f32_u32_e32 v2, s28
	s_sub_i32 s1, 0, s28
	v_mov_b32_e32 v67, v1
	v_rcp_iflag_f32_e32 v2, v2
	v_mul_f32_e32 v2, 0x4f7ffffe, v2
	v_cvt_u32_f32_e32 v2, v2
	v_mul_lo_u32 v3, s1, v2
	v_mul_hi_u32 v3, v2, v3
	v_add_nc_u32_e32 v2, v2, v3
	v_mul_hi_u32 v2, v6, v2
	v_mul_lo_u32 v3, v2, s28
	v_add_nc_u32_e32 v8, 1, v2
	v_sub_nc_u32_e32 v3, v6, v3
	v_subrev_nc_u32_e32 v9, s28, v3
	v_cmp_le_u32_e32 vcc_lo, s28, v3
	v_cndmask_b32_e32 v3, v3, v9, vcc_lo
	v_cndmask_b32_e32 v2, v2, v8, vcc_lo
	v_cmp_le_u32_e32 vcc_lo, s28, v3
	v_add_nc_u32_e32 v8, 1, v2
	v_cndmask_b32_e32 v66, v2, v8, vcc_lo
.LBB0_6:                                ;   in Loop: Header=BB0_2 Depth=1
	s_or_b32 exec_lo, exec_lo, s0
	v_mul_lo_u32 v8, v67, s28
	v_mul_lo_u32 v9, v66, s29
	s_load_dwordx2 s[0:1], s[22:23], 0x0
	v_mad_u64_u32 v[2:3], null, v66, s28, 0
	s_load_dwordx2 s[28:29], s[6:7], 0x0
	s_add_u32 s26, s26, 1
	s_addc_u32 s27, s27, 0
	s_add_u32 s6, s6, 8
	s_addc_u32 s7, s7, 0
	s_add_u32 s22, s22, 8
	v_add3_u32 v3, v3, v9, v8
	v_sub_co_u32 v2, vcc_lo, v6, v2
	s_addc_u32 s23, s23, 0
	s_add_u32 s24, s24, 8
	v_sub_co_ci_u32_e32 v3, vcc_lo, v7, v3, vcc_lo
	s_addc_u32 s25, s25, 0
	s_waitcnt lgkmcnt(0)
	v_mul_lo_u32 v6, s0, v3
	v_mul_lo_u32 v7, s1, v2
	v_mad_u64_u32 v[4:5], null, s0, v2, v[4:5]
	v_mul_lo_u32 v3, s28, v3
	v_mul_lo_u32 v8, s29, v2
	v_mad_u64_u32 v[64:65], null, s28, v2, v[64:65]
	v_cmp_ge_u64_e64 s0, s[26:27], s[14:15]
	v_add3_u32 v5, v7, v5, v6
	v_add3_u32 v65, v8, v65, v3
	s_and_b32 vcc_lo, exec_lo, s0
	s_cbranch_vccnz .LBB0_9
; %bb.7:                                ;   in Loop: Header=BB0_2 Depth=1
	v_mov_b32_e32 v6, v66
	v_mov_b32_e32 v7, v67
	s_branch .LBB0_2
.LBB0_8:
	v_mov_b32_e32 v65, v5
	v_mov_b32_e32 v67, v7
	;; [unrolled: 1-line block ×4, first 2 shown]
.LBB0_9:
	s_load_dwordx2 s[0:1], s[4:5], 0x28
	v_mul_hi_u32 v1, 0x2082083, v0
	s_lshl_b64 s[6:7], s[14:15], 3
                                        ; implicit-def: $vgpr90
                                        ; implicit-def: $vgpr91
                                        ; implicit-def: $vgpr96
                                        ; implicit-def: $vgpr97
                                        ; implicit-def: $vgpr98
                                        ; implicit-def: $vgpr56
                                        ; implicit-def: $vgpr57
	s_add_u32 s4, s18, s6
	s_addc_u32 s5, s19, s7
	s_waitcnt lgkmcnt(0)
	v_cmp_gt_u64_e32 vcc_lo, s[0:1], v[66:67]
	v_cmp_le_u64_e64 s0, s[0:1], v[66:67]
	s_and_saveexec_b32 s1, s0
	s_xor_b32 s0, exec_lo, s1
; %bb.10:
	v_mul_u32_u24_e32 v1, 0x7e, v1
                                        ; implicit-def: $vgpr4_vgpr5
	v_sub_nc_u32_e32 v90, v0, v1
                                        ; implicit-def: $vgpr1
                                        ; implicit-def: $vgpr0
	v_add_nc_u32_e32 v91, 0x7e, v90
	v_add_nc_u32_e32 v96, 0xfc, v90
	;; [unrolled: 1-line block ×6, first 2 shown]
; %bb.11:
	s_or_saveexec_b32 s14, s0
                                        ; implicit-def: $vgpr50_vgpr51
                                        ; implicit-def: $vgpr30_vgpr31
                                        ; implicit-def: $vgpr46_vgpr47
                                        ; implicit-def: $vgpr34_vgpr35
                                        ; implicit-def: $vgpr54_vgpr55
                                        ; implicit-def: $vgpr38_vgpr39
                                        ; implicit-def: $vgpr42_vgpr43
                                        ; implicit-def: $vgpr26_vgpr27
                                        ; implicit-def: $vgpr18_vgpr19
                                        ; implicit-def: $vgpr14_vgpr15
                                        ; implicit-def: $vgpr10_vgpr11
                                        ; implicit-def: $vgpr2_vgpr3
                                        ; implicit-def: $vgpr22_vgpr23
                                        ; implicit-def: $vgpr6_vgpr7
	s_xor_b32 exec_lo, exec_lo, s14
	s_cbranch_execz .LBB0_13
; %bb.12:
	s_add_u32 s0, s16, s6
	s_addc_u32 s1, s17, s7
	v_mul_u32_u24_e32 v1, 0x7e, v1
	s_load_dwordx2 s[0:1], s[0:1], 0x0
	v_sub_nc_u32_e32 v90, v0, v1
	v_lshlrev_b64 v[0:1], 4, v[4:5]
	v_add_nc_u32_e32 v15, 0x372, v90
	v_add_nc_u32_e32 v91, 0x7e, v90
	v_mad_u64_u32 v[2:3], null, s20, v90, 0
	v_add_nc_u32_e32 v17, 0x3f0, v90
	v_mad_u64_u32 v[4:5], null, s20, v15, 0
	v_mad_u64_u32 v[6:7], null, s20, v91, 0
	;; [unrolled: 1-line block ×3, first 2 shown]
	s_waitcnt lgkmcnt(0)
	v_mul_lo_u32 v16, s1, v66
	v_mul_lo_u32 v18, s0, v67
	v_mad_u64_u32 v[8:9], null, s0, v66, 0
	v_mad_u64_u32 v[12:13], null, s21, v90, v[3:4]
	v_mov_b32_e32 v3, v5
	v_mov_b32_e32 v5, v7
	;; [unrolled: 1-line block ×3, first 2 shown]
	v_add_nc_u32_e32 v96, 0xfc, v90
	v_add3_u32 v9, v9, v18, v16
	v_mad_u64_u32 v[15:16], null, s21, v15, v[3:4]
	v_mov_b32_e32 v3, v12
	v_mad_u64_u32 v[11:12], null, s21, v91, v[5:6]
	v_lshlrev_b64 v[8:9], 4, v[8:9]
	v_mad_u64_u32 v[13:14], null, s20, v96, 0
	v_mov_b32_e32 v5, v15
	v_add_nc_u32_e32 v12, 0x46e, v90
	v_lshlrev_b64 v[2:3], 4, v[2:3]
	v_mad_u64_u32 v[16:17], null, s21, v17, v[7:8]
	v_add_co_u32 v7, s0, s8, v8
	v_add_co_ci_u32_e64 v8, s0, s9, v9, s0
	v_add_nc_u32_e32 v97, 0x17a, v90
	v_add_co_u32 v50, s0, v7, v0
	v_mov_b32_e32 v7, v11
	v_add_co_ci_u32_e64 v51, s0, v8, v1, s0
	v_lshlrev_b64 v[0:1], 4, v[4:5]
	v_mov_b32_e32 v11, v16
	v_lshlrev_b64 v[5:6], 4, v[6:7]
	v_mov_b32_e32 v4, v14
	v_mad_u64_u32 v[15:16], null, s20, v12, 0
	v_lshlrev_b64 v[7:8], 4, v[10:11]
	v_add_co_u32 v2, s0, v50, v2
	v_mad_u64_u32 v[9:10], null, s21, v96, v[4:5]
	v_mad_u64_u32 v[24:25], null, s20, v97, 0
	v_mov_b32_e32 v4, v16
	v_add_co_ci_u32_e64 v3, s0, v51, v3, s0
	v_add_co_u32 v0, s0, v50, v0
	v_mov_b32_e32 v14, v9
	v_mad_u64_u32 v[19:20], null, s21, v12, v[4:5]
	v_add_nc_u32_e32 v30, 0x4ec, v90
	v_add_co_ci_u32_e64 v1, s0, v51, v1, s0
	v_add_co_u32 v10, s0, v50, v5
	v_add_co_ci_u32_e64 v11, s0, v51, v6, s0
	v_lshlrev_b64 v[12:13], 4, v[13:14]
	v_mov_b32_e32 v14, v25
	v_mad_u64_u32 v[26:27], null, s20, v30, 0
	v_add_co_u32 v17, s0, v50, v7
	v_add_co_ci_u32_e64 v18, s0, v51, v8, s0
	v_mov_b32_e32 v16, v19
	v_add_nc_u32_e32 v98, 0x1f8, v90
	s_clause 0x3
	global_load_dwordx4 v[4:7], v[2:3], off
	global_load_dwordx4 v[20:23], v[0:1], off
	;; [unrolled: 1-line block ×4, first 2 shown]
	v_mad_u64_u32 v[17:18], null, s21, v97, v[14:15]
	v_lshlrev_b64 v[14:15], 4, v[15:16]
	v_mov_b32_e32 v16, v27
	v_mad_u64_u32 v[28:29], null, s20, v98, 0
	v_add_co_u32 v12, s0, v50, v12
	v_mov_b32_e32 v25, v17
	v_mad_u64_u32 v[16:17], null, s21, v30, v[16:17]
	v_add_co_ci_u32_e64 v13, s0, v51, v13, s0
	v_add_co_u32 v17, s0, v50, v14
	v_mov_b32_e32 v14, v29
	v_add_nc_u32_e32 v34, 0x56a, v90
	v_mov_b32_e32 v27, v16
	v_lshlrev_b64 v[24:25], 4, v[24:25]
	v_add_co_ci_u32_e64 v18, s0, v51, v15, s0
	v_mad_u64_u32 v[32:33], null, s21, v98, v[14:15]
	v_mad_u64_u32 v[30:31], null, s20, v34, 0
	v_lshlrev_b64 v[26:27], 4, v[26:27]
	v_add_co_u32 v24, s0, v50, v24
	v_add_nc_u32_e32 v56, 0x276, v90
	v_mov_b32_e32 v29, v32
	v_add_nc_u32_e32 v42, 0x5e8, v90
	v_add_co_ci_u32_e64 v25, s0, v51, v25, s0
	v_mad_u64_u32 v[31:32], null, s21, v34, v[31:32]
	v_add_co_u32 v32, s0, v50, v26
	v_add_co_ci_u32_e64 v33, s0, v51, v27, s0
	v_lshlrev_b64 v[26:27], 4, v[28:29]
	v_mad_u64_u32 v[28:29], null, s20, v56, 0
	v_mad_u64_u32 v[34:35], null, s20, v42, 0
	v_add_nc_u32_e32 v57, 0x2f4, v90
	v_add_co_u32 v36, s0, v50, v26
	v_add_nc_u32_e32 v48, 0x666, v90
	v_add_co_ci_u32_e64 v37, s0, v51, v27, s0
	v_mad_u64_u32 v[38:39], null, s20, v57, 0
	v_mov_b32_e32 v26, v29
	v_mov_b32_e32 v27, v35
	v_lshlrev_b64 v[29:30], 4, v[30:31]
	v_mad_u64_u32 v[44:45], null, s20, v48, 0
	s_clause 0x1
	global_load_dwordx4 v[12:15], v[12:13], off
	global_load_dwordx4 v[16:19], v[17:18], off
	v_mad_u64_u32 v[40:41], null, s21, v56, v[26:27]
	v_mad_u64_u32 v[26:27], null, s21, v42, v[27:28]
	v_mov_b32_e32 v27, v39
	v_add_co_u32 v46, s0, v50, v29
	v_add_co_ci_u32_e64 v47, s0, v51, v30, s0
	v_mad_u64_u32 v[30:31], null, s21, v57, v[27:28]
	v_mov_b32_e32 v31, v45
	v_mov_b32_e32 v29, v40
	v_mov_b32_e32 v35, v26
	s_clause 0x1
	global_load_dwordx4 v[24:27], v[24:25], off
	global_load_dwordx4 v[40:43], v[32:33], off
	v_mad_u64_u32 v[31:32], null, s21, v48, v[31:32]
	v_lshlrev_b64 v[28:29], 4, v[28:29]
	v_lshlrev_b64 v[32:33], 4, v[34:35]
	v_mov_b32_e32 v39, v30
	v_add_co_u32 v28, s0, v50, v28
	v_mov_b32_e32 v45, v31
	v_add_co_ci_u32_e64 v29, s0, v51, v29, s0
	v_lshlrev_b64 v[34:35], 4, v[38:39]
	v_add_co_u32 v30, s0, v50, v32
	v_add_co_ci_u32_e64 v31, s0, v51, v33, s0
	v_lshlrev_b64 v[32:33], 4, v[44:45]
	v_add_co_u32 v48, s0, v50, v34
	v_add_co_ci_u32_e64 v49, s0, v51, v35, s0
	v_add_co_u32 v50, s0, v50, v32
	v_add_co_ci_u32_e64 v51, s0, v51, v33, s0
	s_clause 0x5
	global_load_dwordx4 v[36:39], v[36:37], off
	global_load_dwordx4 v[52:55], v[46:47], off
	;; [unrolled: 1-line block ×6, first 2 shown]
.LBB0_13:
	s_or_b32 exec_lo, exec_lo, s14
	s_waitcnt vmcnt(6)
	v_add_f64 v[78:79], v[24:25], -v[40:41]
	s_waitcnt vmcnt(0)
	v_add_f64 v[106:107], v[28:29], -v[48:49]
	v_add_f64 v[85:86], v[36:37], -v[52:53]
	;; [unrolled: 1-line block ×9, first 2 shown]
	v_lshl_add_u32 v52, v90, 4, 0
	v_lshl_add_u32 v82, v91, 4, 0
	;; [unrolled: 1-line block ×4, first 2 shown]
	v_lshlrev_b32_e32 v109, 3, v97
	v_lshl_add_u32 v93, v98, 4, 0
	v_lshlrev_b32_e32 v94, 3, v98
	v_lshl_add_u32 v53, v56, 4, 0
	s_load_dwordx2 s[4:5], s[4:5], 0x0
	v_lshl_add_u32 v99, v57, 4, 0
	v_lshlrev_b32_e32 v108, 3, v96
	v_lshlrev_b32_e32 v95, 3, v91
	v_fma_f64 v[76:77], v[24:25], 2.0, -v[78:79]
	v_fma_f64 v[104:105], v[28:29], 2.0, -v[106:107]
	v_add_f64 v[24:25], v[2:3], -v[10:11]
	v_add_f64 v[28:29], v[26:27], -v[42:43]
	v_fma_f64 v[83:84], v[36:37], 2.0, -v[85:86]
	v_add_f64 v[36:37], v[34:35], -v[46:47]
	v_fma_f64 v[100:101], v[32:33], 2.0, -v[102:103]
	v_add_f64 v[32:33], v[30:31], -v[50:51]
	v_fma_f64 v[58:59], v[4:5], 2.0, -v[60:61]
	v_fma_f64 v[68:69], v[0:1], 2.0, -v[70:71]
	v_fma_f64 v[72:73], v[12:13], 2.0, -v[74:75]
	;; [unrolled: 1-line block ×5, first 2 shown]
	v_lshlrev_b32_e32 v0, 3, v90
	v_lshlrev_b32_e32 v1, 3, v56
	v_sub_nc_u32_e32 v110, v82, v95
	v_lshlrev_b32_e32 v56, 1, v56
	v_cmp_gt_u32_e64 s0, 0x54, v90
	v_sub_nc_u32_e32 v92, v52, v0
	ds_write_b128 v52, v[58:61]
	ds_write_b128 v82, v[68:71]
	;; [unrolled: 1-line block ×7, first 2 shown]
	v_fma_f64 v[22:23], v[2:3], 2.0, -v[24:25]
	v_fma_f64 v[26:27], v[26:27], 2.0, -v[28:29]
	;; [unrolled: 1-line block ×4, first 2 shown]
	v_lshlrev_b32_e32 v100, 3, v57
	v_sub_nc_u32_e32 v106, v80, v109
	v_and_b32_e32 v75, 1, v90
	v_sub_nc_u32_e32 v74, v93, v94
	v_sub_nc_u32_e32 v76, v53, v1
	;; [unrolled: 1-line block ×4, first 2 shown]
	v_add_nc_u32_e32 v83, 0x1800, v92
	s_waitcnt lgkmcnt(0)
	s_barrier
	buffer_gl0_inv
	v_add_nc_u32_e32 v42, 0x2000, v92
	v_add_nc_u32_e32 v50, 0x2800, v92
	ds_read_b64 v[12:13], v92
	ds_read_b64 v[44:45], v106
	;; [unrolled: 1-line block ×7, first 2 shown]
	ds_read_b64 v[48:49], v92 offset:13104
	ds_read2_b64 v[8:11], v83 offset0:114 offset1:240
	ds_read2_b64 v[4:7], v42 offset0:110 offset1:236
	;; [unrolled: 1-line block ×3, first 2 shown]
	s_waitcnt lgkmcnt(0)
	s_barrier
	buffer_gl0_inv
	ds_write_b128 v52, v[18:21]
	ds_write_b128 v82, v[22:25]
	;; [unrolled: 1-line block ×6, first 2 shown]
	v_lshlrev_b32_e32 v14, 4, v75
	ds_write_b128 v99, v[30:33]
	s_waitcnt lgkmcnt(0)
	s_barrier
	buffer_gl0_inv
	global_load_dwordx4 v[28:31], v14, s[12:13]
	ds_read2_b64 v[32:35], v83 offset0:114 offset1:240
	ds_read2_b64 v[40:43], v42 offset0:110 offset1:236
	;; [unrolled: 1-line block ×3, first 2 shown]
	ds_read_b64 v[50:51], v92 offset:13104
	v_lshlrev_b32_e32 v77, 1, v90
	v_lshlrev_b32_e32 v79, 1, v97
	;; [unrolled: 1-line block ×4, first 2 shown]
	v_and_or_b32 v89, 0x5fc, v56, v75
	v_and_or_b32 v77, 0xfc, v77, v75
	;; [unrolled: 1-line block ×4, first 2 shown]
	v_add_nc_u32_e32 v104, 0x1000, v92
	ds_read_b64 v[54:55], v92
	ds_read_b64 v[52:53], v101
	;; [unrolled: 1-line block ×3, first 2 shown]
	v_lshl_add_u32 v84, v77, 3, 0
	v_lshl_add_u32 v87, v79, 3, 0
	;; [unrolled: 1-line block ×4, first 2 shown]
	v_add_nc_u32_e32 v105, 0x2400, v92
	v_add_nc_u32_e32 v103, 0x2c00, v92
	s_waitcnt vmcnt(0) lgkmcnt(6)
	v_mul_f64 v[14:15], v[32:33], v[30:31]
	v_mul_f64 v[16:17], v[34:35], v[30:31]
	s_waitcnt lgkmcnt(5)
	v_mul_f64 v[18:19], v[40:41], v[30:31]
	v_mul_f64 v[20:21], v[42:43], v[30:31]
	s_waitcnt lgkmcnt(4)
	;; [unrolled: 3-line block ×3, first 2 shown]
	v_mul_f64 v[26:27], v[50:51], v[30:31]
	v_fma_f64 v[14:15], v[8:9], v[28:29], -v[14:15]
	v_fma_f64 v[16:17], v[10:11], v[28:29], -v[16:17]
	;; [unrolled: 1-line block ×7, first 2 shown]
	v_add_f64 v[14:15], v[12:13], -v[14:15]
	v_add_f64 v[16:17], v[72:73], -v[16:17]
	;; [unrolled: 1-line block ×7, first 2 shown]
	v_lshlrev_b32_e32 v26, 1, v91
	v_lshlrev_b32_e32 v27, 1, v96
	v_and_or_b32 v26, 0x1fc, v26, v75
	v_and_or_b32 v86, 0x3fc, v27, v75
	v_and_or_b32 v75, 0x7fc, v57, v75
	v_lshl_add_u32 v85, v26, 3, 0
	v_lshl_add_u32 v86, v86, 3, 0
	;; [unrolled: 1-line block ×3, first 2 shown]
	v_fma_f64 v[12:13], v[12:13], 2.0, -v[14:15]
	v_fma_f64 v[26:27], v[72:73], 2.0, -v[16:17]
	;; [unrolled: 1-line block ×7, first 2 shown]
	ds_read_b64 v[72:73], v106
	ds_read_b64 v[74:75], v74
	;; [unrolled: 1-line block ×4, first 2 shown]
	s_waitcnt lgkmcnt(0)
	s_barrier
	buffer_gl0_inv
	ds_write2_b64 v84, v[12:13], v[14:15] offset1:2
	ds_write2_b64 v85, v[26:27], v[16:17] offset1:2
	;; [unrolled: 1-line block ×7, first 2 shown]
	s_waitcnt lgkmcnt(0)
	s_barrier
	buffer_gl0_inv
	ds_read_b64 v[56:57], v101
	ds_read_b64 v[46:47], v106
	;; [unrolled: 1-line block ×4, first 2 shown]
	ds_read2_b64 v[20:23], v104 offset0:76 offset1:202
	ds_read2_b64 v[24:27], v105 offset0:24 offset1:150
	;; [unrolled: 1-line block ×4, first 2 shown]
	v_sub_nc_u32_e32 v68, 0, v94
	v_sub_nc_u32_e32 v101, 0, v109
	v_add_nc_u32_e32 v94, v93, v68
	v_sub_nc_u32_e32 v93, 0, v95
	v_sub_nc_u32_e32 v95, 0, v108
                                        ; implicit-def: $vgpr68_vgpr69
	s_and_saveexec_b32 s1, s0
	s_cbranch_execz .LBB0_15
; %bb.14:
	ds_read_b64 v[62:63], v92 offset:8736
	ds_read_b64 v[44:45], v94
	ds_read_b64 v[68:69], v92 offset:13440
.LBB0_15:
	s_or_b32 exec_lo, exec_lo, s1
	v_mul_f64 v[8:9], v[8:9], v[30:31]
	v_mul_f64 v[10:11], v[10:11], v[30:31]
	;; [unrolled: 1-line block ×7, first 2 shown]
	s_waitcnt lgkmcnt(0)
	s_barrier
	buffer_gl0_inv
	v_add_nc_u32_e32 v93, v82, v93
	v_add_nc_u32_e32 v95, v81, v95
	;; [unrolled: 1-line block ×3, first 2 shown]
	v_fma_f64 v[8:9], v[32:33], v[28:29], v[8:9]
	v_fma_f64 v[10:11], v[34:35], v[28:29], v[10:11]
	;; [unrolled: 1-line block ×7, first 2 shown]
	v_add_f64 v[8:9], v[54:55], -v[8:9]
	v_add_f64 v[10:11], v[70:71], -v[10:11]
	;; [unrolled: 1-line block ×7, first 2 shown]
	v_fma_f64 v[28:29], v[54:55], 2.0, -v[8:9]
	v_fma_f64 v[30:31], v[70:71], 2.0, -v[10:11]
	;; [unrolled: 1-line block ×7, first 2 shown]
	ds_write2_b64 v84, v[28:29], v[8:9] offset1:2
	ds_write2_b64 v85, v[30:31], v[10:11] offset1:2
	;; [unrolled: 1-line block ×7, first 2 shown]
	s_waitcnt lgkmcnt(0)
	s_barrier
	buffer_gl0_inv
	ds_read2_b64 v[8:11], v104 offset0:76 offset1:202
	ds_read2_b64 v[28:31], v105 offset0:24 offset1:150
	;; [unrolled: 1-line block ×4, first 2 shown]
	ds_read_b64 v[54:55], v92
	ds_read_b64 v[52:53], v93
	;; [unrolled: 1-line block ×4, first 2 shown]
                                        ; implicit-def: $vgpr36_vgpr37
	s_and_saveexec_b32 s1, s0
	s_cbranch_execz .LBB0_17
; %bb.16:
	ds_read_b64 v[32:33], v92 offset:8736
	ds_read_b64 v[34:35], v94
	ds_read_b64 v[36:37], v92 offset:13440
.LBB0_17:
	s_or_b32 exec_lo, exec_lo, s1
	v_and_b32_e32 v102, 3, v90
	v_and_b32_e32 v135, 3, v91
	;; [unrolled: 1-line block ×3, first 2 shown]
	s_mov_b32 s6, 0xe8584caa
	s_mov_b32 s7, 0x3febb67a
	v_lshlrev_b32_e32 v42, 5, v102
	v_lshlrev_b32_e32 v43, 5, v135
	;; [unrolled: 1-line block ×3, first 2 shown]
	s_mov_b32 s9, 0xbfebb67a
	s_mov_b32 s8, s6
	s_clause 0x5
	global_load_dwordx4 v[38:41], v42, s[12:13] offset:32
	global_load_dwordx4 v[86:89], v42, s[12:13] offset:48
	;; [unrolled: 1-line block ×6, first 2 shown]
	s_waitcnt vmcnt(0) lgkmcnt(0)
	s_barrier
	buffer_gl0_inv
	v_mul_f64 v[42:43], v[8:9], v[40:41]
	v_mul_f64 v[70:71], v[28:29], v[88:89]
	;; [unrolled: 1-line block ×20, first 2 shown]
	v_fma_f64 v[78:79], v[20:21], v[38:39], -v[42:43]
	v_fma_f64 v[80:81], v[24:25], v[86:87], -v[70:71]
	;; [unrolled: 1-line block ×10, first 2 shown]
	v_fma_f64 v[68:69], v[8:9], v[38:39], v[125:126]
	v_fma_f64 v[16:17], v[28:29], v[86:87], v[127:128]
	;; [unrolled: 1-line block ×10, first 2 shown]
	v_add_f64 v[10:11], v[60:61], v[78:79]
	v_add_f64 v[0:1], v[78:79], v[80:81]
	;; [unrolled: 1-line block ×10, first 2 shown]
	v_add_f64 v[12:13], v[68:69], -v[16:17]
	v_add_f64 v[40:41], v[28:29], -v[18:19]
	;; [unrolled: 1-line block ×3, first 2 shown]
	v_add_f64 v[10:11], v[10:11], v[80:81]
	v_fma_f64 v[0:1], v[0:1], -0.5, v[60:61]
	v_lshrrev_b32_e32 v60, 2, v97
	v_fma_f64 v[4:5], v[4:5], -0.5, v[58:59]
	v_lshrrev_b32_e32 v58, 2, v96
	v_add_f64 v[14:15], v[14:15], v[72:73]
	v_fma_f64 v[6:7], v[6:7], -0.5, v[46:47]
	v_add_f64 v[46:47], v[88:89], -v[86:87]
	v_fma_f64 v[8:9], v[8:9], -0.5, v[44:45]
	v_fma_f64 v[2:3], v[2:3], -0.5, v[56:57]
	v_add_f64 v[56:57], v[84:85], -v[82:83]
	v_lshrrev_b32_e32 v44, 2, v90
	v_lshrrev_b32_e32 v45, 2, v91
	v_mul_lo_u32 v104, v58, 12
	v_add_f64 v[58:59], v[36:37], v[76:77]
	v_mul_u32_u24_e32 v61, 12, v44
	v_mul_lo_u32 v103, v45, 12
	v_add_f64 v[44:45], v[32:33], v[74:75]
	v_add_f64 v[32:33], v[38:39], v[62:63]
	v_fma_f64 v[106:107], v[12:13], s[6:7], v[0:1]
	v_fma_f64 v[0:1], v[12:13], s[8:9], v[0:1]
	;; [unrolled: 1-line block ×7, first 2 shown]
	v_mul_lo_u32 v8, v60, 12
	v_fma_f64 v[2:3], v[42:43], s[8:9], v[2:3]
	v_fma_f64 v[42:43], v[56:57], s[6:7], v[6:7]
	v_fma_f64 v[6:7], v[56:57], s[8:9], v[6:7]
	v_or_b32_e32 v9, v61, v102
	v_or_b32_e32 v46, v103, v135
	;; [unrolled: 1-line block ×3, first 2 shown]
	v_lshrrev_b32_e32 v60, 2, v98
	v_or_b32_e32 v8, v8, v136
	v_lshl_add_u32 v104, v9, 3, 0
	v_lshl_add_u32 v105, v46, 3, 0
	;; [unrolled: 1-line block ×4, first 2 shown]
	ds_write2_b64 v104, v[10:11], v[106:107] offset1:4
	ds_write_b64 v104, v[0:1] offset:64
	ds_write2_b64 v105, v[14:15], v[12:13] offset1:4
	ds_write_b64 v105, v[4:5] offset:64
	;; [unrolled: 2-line block ×4, first 2 shown]
	s_and_saveexec_b32 s1, s0
	s_cbranch_execz .LBB0_19
; %bb.18:
	v_mul_lo_u32 v0, v60, 12
	v_or_b32_e32 v0, v0, v102
	v_lshl_add_u32 v0, v0, 3, 0
	ds_write2_b64 v0, v[32:33], v[36:37] offset1:4
	ds_write_b64 v0, v[38:39] offset:64
.LBB0_19:
	s_or_b32 exec_lo, exec_lo, s1
	v_add_nc_u32_e32 v0, 0x1000, v92
	v_add_nc_u32_e32 v1, 0x2400, v92
	;; [unrolled: 1-line block ×4, first 2 shown]
	s_waitcnt lgkmcnt(0)
	s_barrier
	buffer_gl0_inv
	ds_read2_b64 v[8:11], v0 offset0:76 offset1:202
	ds_read2_b64 v[12:15], v1 offset0:24 offset1:150
	;; [unrolled: 1-line block ×4, first 2 shown]
	ds_read_b64 v[46:47], v92
	ds_read_b64 v[44:45], v93
	;; [unrolled: 1-line block ×4, first 2 shown]
	s_and_saveexec_b32 s1, s0
	s_cbranch_execz .LBB0_21
; %bb.20:
	ds_read_b64 v[36:37], v92 offset:8736
	ds_read_b64 v[32:33], v94
	ds_read_b64 v[38:39], v92 offset:13440
.LBB0_21:
	s_or_b32 exec_lo, exec_lo, s1
	v_add_f64 v[56:57], v[68:69], v[16:17]
	v_add_f64 v[58:59], v[28:29], v[18:19]
	;; [unrolled: 1-line block ×6, first 2 shown]
	v_add_f64 v[78:79], v[78:79], -v[80:81]
	v_add_f64 v[28:29], v[52:53], v[28:29]
	v_add_f64 v[30:31], v[50:51], v[30:31]
	;; [unrolled: 1-line block ×4, first 2 shown]
	v_add_f64 v[24:25], v[24:25], -v[72:73]
	v_add_f64 v[26:27], v[26:27], -v[74:75]
	;; [unrolled: 1-line block ×3, first 2 shown]
	s_mov_b32 s6, 0xe8584caa
	s_mov_b32 s7, 0xbfebb67a
	;; [unrolled: 1-line block ×4, first 2 shown]
	s_waitcnt lgkmcnt(0)
	s_barrier
	buffer_gl0_inv
	v_fma_f64 v[54:55], v[56:57], -0.5, v[54:55]
	v_fma_f64 v[52:53], v[58:59], -0.5, v[52:53]
	;; [unrolled: 1-line block ×3, first 2 shown]
	v_add_f64 v[56:57], v[70:71], -v[76:77]
	v_fma_f64 v[48:49], v[108:109], -0.5, v[48:49]
	v_fma_f64 v[62:63], v[110:111], -0.5, v[34:35]
	v_add_f64 v[16:17], v[68:69], v[16:17]
	v_add_f64 v[18:19], v[28:29], v[18:19]
	;; [unrolled: 1-line block ×5, first 2 shown]
	v_fma_f64 v[30:31], v[78:79], s[6:7], v[54:55]
	v_fma_f64 v[68:69], v[24:25], s[6:7], v[52:53]
	;; [unrolled: 1-line block ×10, first 2 shown]
	ds_write2_b64 v104, v[16:17], v[30:31] offset1:4
	ds_write_b64 v104, v[54:55] offset:64
	ds_write2_b64 v105, v[18:19], v[68:69] offset1:4
	ds_write_b64 v105, v[24:25] offset:64
	;; [unrolled: 2-line block ×4, first 2 shown]
	s_and_saveexec_b32 s1, s0
	s_cbranch_execz .LBB0_23
; %bb.22:
	v_mul_lo_u32 v16, v60, 12
	v_or_b32_e32 v16, v16, v102
	v_lshl_add_u32 v16, v16, 3, 0
	ds_write2_b64 v16, v[34:35], v[58:59] offset1:4
	ds_write_b64 v16, v[56:57] offset:64
.LBB0_23:
	s_or_b32 exec_lo, exec_lo, s1
	v_add_nc_u32_e32 v16, 0x1000, v92
	v_add_nc_u32_e32 v17, 0x2400, v92
	;; [unrolled: 1-line block ×4, first 2 shown]
	s_waitcnt lgkmcnt(0)
	s_barrier
	buffer_gl0_inv
	ds_read2_b64 v[24:27], v16 offset0:76 offset1:202
	ds_read2_b64 v[28:31], v17 offset0:24 offset1:150
	;; [unrolled: 1-line block ×4, first 2 shown]
	ds_read_b64 v[54:55], v92
	ds_read_b64 v[52:53], v93
	;; [unrolled: 1-line block ×4, first 2 shown]
	s_and_saveexec_b32 s1, s0
	s_cbranch_execz .LBB0_25
; %bb.24:
	ds_read_b64 v[58:59], v92 offset:8736
	ds_read_b64 v[34:35], v94
	ds_read_b64 v[56:57], v92 offset:13440
.LBB0_25:
	s_or_b32 exec_lo, exec_lo, s1
	v_and_b32_e32 v71, 0xff, v90
	v_and_b32_e32 v70, 0xff, v91
	v_mov_b32_e32 v60, 0xaaab
	s_mov_b32 s6, 0xe8584caa
	s_mov_b32 s7, 0x3febb67a
	v_mul_lo_u16 v61, 0xab, v71
	v_mul_lo_u16 v62, 0xab, v70
	v_mul_u32_u24_sdwa v63, v96, v60 dst_sel:DWORD dst_unused:UNUSED_PAD src0_sel:WORD_0 src1_sel:DWORD
	s_mov_b32 s9, 0xbfebb67a
	s_mov_b32 s8, s6
	v_lshrrev_b16 v89, 11, v61
	v_mul_u32_u24_sdwa v61, v97, v60 dst_sel:DWORD dst_unused:UNUSED_PAD src0_sel:WORD_0 src1_sel:DWORD
	v_lshrrev_b16 v133, 11, v62
	v_lshrrev_b32_e32 v134, 19, v63
	v_mov_b32_e32 v63, 5
	v_mul_lo_u16 v62, v89, 12
	v_lshrrev_b32_e32 v135, 19, v61
	v_mul_lo_u16 v61, v133, 12
	v_mul_lo_u16 v68, v134, 12
	v_mul_u32_u24_sdwa v60, v98, v60 dst_sel:DWORD dst_unused:UNUSED_PAD src0_sel:WORD_0 src1_sel:DWORD
	v_sub_nc_u16 v136, v90, v62
	v_mul_lo_u16 v62, v135, 12
	v_sub_nc_u16 v137, v91, v61
	v_sub_nc_u16 v138, v96, v68
	v_lshrrev_b32_e32 v140, 19, v60
	v_lshlrev_b32_sdwa v61, v63, v136 dst_sel:DWORD dst_unused:UNUSED_PAD src0_sel:DWORD src1_sel:BYTE_0
	v_sub_nc_u16 v139, v97, v62
	v_lshlrev_b32_sdwa v62, v63, v137 dst_sel:DWORD dst_unused:UNUSED_PAD src0_sel:DWORD src1_sel:BYTE_0
	v_lshlrev_b32_sdwa v68, v63, v138 dst_sel:DWORD dst_unused:UNUSED_PAD src0_sel:DWORD src1_sel:WORD_0
	v_mul_lo_u16 v60, v140, 12
	s_clause 0x1
	global_load_dwordx4 v[73:76], v61, s[12:13] offset:176
	global_load_dwordx4 v[77:80], v61, s[12:13] offset:160
	v_lshlrev_b32_sdwa v61, v63, v139 dst_sel:DWORD dst_unused:UNUSED_PAD src0_sel:DWORD src1_sel:WORD_0
	s_clause 0x5
	global_load_dwordx4 v[81:84], v62, s[12:13] offset:160
	global_load_dwordx4 v[85:88], v62, s[12:13] offset:176
	;; [unrolled: 1-line block ×6, first 2 shown]
	v_sub_nc_u16 v72, v98, v60
	v_lshlrev_b32_sdwa v60, v63, v72 dst_sel:DWORD dst_unused:UNUSED_PAD src0_sel:DWORD src1_sel:WORD_0
	s_clause 0x1
	global_load_dwordx4 v[117:120], v60, s[12:13] offset:160
	global_load_dwordx4 v[121:124], v60, s[12:13] offset:176
	s_waitcnt vmcnt(0) lgkmcnt(0)
	s_barrier
	buffer_gl0_inv
	v_mul_f64 v[68:69], v[26:27], v[83:84]
	v_mul_f64 v[96:97], v[30:31], v[87:88]
	;; [unrolled: 1-line block ×16, first 2 shown]
	v_fma_f64 v[10:11], v[10:11], v[81:82], -v[68:69]
	v_fma_f64 v[14:15], v[14:15], v[85:86], -v[96:97]
	;; [unrolled: 1-line block ×8, first 2 shown]
	v_fma_f64 v[24:25], v[24:25], v[77:78], v[79:80]
	v_fma_f64 v[4:5], v[28:29], v[73:74], v[75:76]
	;; [unrolled: 1-line block ×8, first 2 shown]
	v_sub_nc_u32_e32 v18, 0, v100
	v_mul_f64 v[77:78], v[58:59], v[119:120]
	v_mul_f64 v[79:80], v[36:37], v[119:120]
	;; [unrolled: 1-line block ×3, first 2 shown]
	v_mov_b32_e32 v19, 3
	v_mul_u32_u24_e32 v104, 0x120, v134
	v_add_f64 v[87:88], v[44:45], v[10:11]
	v_add_f64 v[73:74], v[10:11], v[14:15]
	;; [unrolled: 1-line block ×8, first 2 shown]
	v_add_f64 v[85:86], v[24:25], -v[4:5]
	v_add_f64 v[102:103], v[26:27], -v[6:7]
	v_fma_f64 v[36:37], v[36:37], v[117:118], -v[77:78]
	v_add_f64 v[77:78], v[87:88], v[14:15]
	v_fma_f64 v[44:45], v[73:74], -0.5, v[44:45]
	v_add_f64 v[73:74], v[20:21], -v[8:9]
	v_fma_f64 v[46:47], v[30:31], -0.5, v[46:47]
	v_mov_b32_e32 v30, 0x120
	v_fma_f64 v[22:23], v[22:23], -0.5, v[42:43]
	v_add_f64 v[42:43], v[16:17], -v[28:29]
	v_fma_f64 v[40:41], v[75:76], -0.5, v[40:41]
	v_mul_f64 v[75:76], v[38:39], v[123:124]
	v_mul_u32_u24_sdwa v89, v89, v30 dst_sel:DWORD dst_unused:UNUSED_PAD src0_sel:WORD_0 src1_sel:DWORD
	v_mul_u32_u24_sdwa v98, v133, v30 dst_sel:DWORD dst_unused:UNUSED_PAD src0_sel:WORD_0 src1_sel:DWORD
	v_fma_f64 v[30:31], v[58:59], v[117:118], v[79:80]
	v_fma_f64 v[38:39], v[38:39], v[121:122], -v[81:82]
	v_add_f64 v[58:59], v[83:84], v[62:63]
	v_add_f64 v[81:82], v[100:101], v[2:3]
	;; [unrolled: 1-line block ×3, first 2 shown]
	v_fma_f64 v[87:88], v[102:103], s[6:7], v[44:45]
	v_fma_f64 v[96:97], v[102:103], s[8:9], v[44:45]
	;; [unrolled: 1-line block ×9, first 2 shown]
	v_mul_u32_u24_e32 v45, 0x120, v135
	v_lshlrev_b32_sdwa v46, v19, v136 dst_sel:DWORD dst_unused:UNUSED_PAD src0_sel:DWORD src1_sel:BYTE_0
	v_lshlrev_b32_sdwa v56, v19, v137 dst_sel:DWORD dst_unused:UNUSED_PAD src0_sel:DWORD src1_sel:BYTE_0
	v_lshlrev_b32_sdwa v57, v19, v138 dst_sel:DWORD dst_unused:UNUSED_PAD src0_sel:DWORD src1_sel:WORD_0
	v_lshlrev_b32_sdwa v75, v19, v139 dst_sel:DWORD dst_unused:UNUSED_PAD src0_sel:DWORD src1_sel:WORD_0
	v_mul_lo_u16 v44, v140, 36
	v_add3_u32 v47, 0, v89, v46
	v_add3_u32 v56, 0, v98, v56
	;; [unrolled: 1-line block ×4, first 2 shown]
	ds_write2_b64 v47, v[58:59], v[83:84] offset1:12
	ds_write_b64 v47, v[85:86] offset:192
	ds_write2_b64 v56, v[77:78], v[87:88] offset1:12
	ds_write_b64 v56, v[96:97] offset:192
	;; [unrolled: 2-line block ×4, first 2 shown]
	s_and_saveexec_b32 s1, s0
	s_cbranch_execz .LBB0_27
; %bb.26:
	v_add_f64 v[22:23], v[36:37], v[38:39]
	v_add_f64 v[42:43], v[30:31], -v[40:41]
	v_add_f64 v[57:58], v[32:33], v[36:37]
	v_fma_f64 v[22:23], v[22:23], -0.5, v[32:33]
	v_add_f64 v[32:33], v[57:58], v[38:39]
	v_fma_f64 v[57:58], v[42:43], s[6:7], v[22:23]
	v_fma_f64 v[22:23], v[42:43], s[8:9], v[22:23]
	v_lshlrev_b32_sdwa v42, v19, v72 dst_sel:DWORD dst_unused:UNUSED_PAD src0_sel:DWORD src1_sel:WORD_0
	v_lshlrev_b32_sdwa v19, v19, v44 dst_sel:DWORD dst_unused:UNUSED_PAD src0_sel:DWORD src1_sel:WORD_0
	v_add3_u32 v19, 0, v42, v19
	ds_write2_b64 v19, v[32:33], v[57:58] offset1:12
	ds_write_b64 v19, v[22:23] offset:192
.LBB0_27:
	s_or_b32 exec_lo, exec_lo, s1
	v_add_f64 v[22:23], v[24:25], v[4:5]
	v_add_f64 v[32:33], v[26:27], v[6:7]
	;; [unrolled: 1-line block ×5, first 2 shown]
	v_add_f64 v[59:60], v[60:61], -v[62:63]
	v_add_f64 v[12:13], v[12:13], -v[68:69]
	v_add_f64 v[68:69], v[48:49], v[16:17]
	v_add_f64 v[61:62], v[52:53], v[26:27]
	v_add_f64 v[10:11], v[10:11], -v[14:15]
	v_add_f64 v[14:15], v[50:51], v[20:21]
	v_add_f64 v[75:76], v[0:1], -v[2:3]
	v_add_nc_u32_e32 v80, v99, v18
	s_waitcnt lgkmcnt(0)
	s_barrier
	buffer_gl0_inv
	ds_read_b64 v[16:17], v92
	v_fma_f64 v[54:55], v[22:23], -0.5, v[54:55]
	v_fma_f64 v[52:53], v[32:33], -0.5, v[52:53]
	v_fma_f64 v[50:51], v[42:43], -0.5, v[50:51]
	v_fma_f64 v[48:49], v[57:58], -0.5, v[48:49]
	v_add_nc_u32_e32 v33, 0x2000, v92
	v_add_nc_u32_e32 v42, 0x2800, v92
	;; [unrolled: 1-line block ×4, first 2 shown]
	ds_read_b64 v[26:27], v95
	ds_read_b64 v[18:19], v93
	ds_read_b64 v[20:21], v92 offset:13104
	ds_read_b64 v[24:25], v94
	ds_read_b64 v[22:23], v80
	ds_read2_b64 v[0:3], v32 offset0:114 offset1:240
	v_add_f64 v[57:58], v[73:74], v[4:5]
	v_add_f64 v[28:29], v[68:69], v[28:29]
	;; [unrolled: 1-line block ×4, first 2 shown]
	v_fma_f64 v[68:69], v[59:60], s[8:9], v[54:55]
	v_fma_f64 v[54:55], v[59:60], s[6:7], v[54:55]
	;; [unrolled: 1-line block ×6, first 2 shown]
	ds_read2_b64 v[4:7], v33 offset0:110 offset1:236
	ds_read2_b64 v[8:11], v42 offset0:106 offset1:232
	;; [unrolled: 1-line block ×3, first 2 shown]
	v_fma_f64 v[81:82], v[75:76], s[8:9], v[48:49]
	v_fma_f64 v[48:49], v[75:76], s[6:7], v[48:49]
	s_waitcnt lgkmcnt(0)
	s_barrier
	buffer_gl0_inv
	ds_write2_b64 v47, v[57:58], v[68:69] offset1:12
	ds_write_b64 v47, v[54:55] offset:192
	ds_write2_b64 v56, v[61:62], v[59:60] offset1:12
	ds_write_b64 v56, v[52:53] offset:192
	;; [unrolled: 2-line block ×4, first 2 shown]
	s_and_saveexec_b32 s1, s0
	s_cbranch_execz .LBB0_29
; %bb.28:
	v_add_f64 v[28:29], v[30:31], v[40:41]
	v_add_f64 v[36:37], v[36:37], -v[38:39]
	v_add_f64 v[30:31], v[34:35], v[30:31]
	s_mov_b32 s7, 0xbfebb67a
	s_mov_b32 s6, 0xe8584caa
	v_fma_f64 v[28:29], v[28:29], -0.5, v[34:35]
	v_add_f64 v[30:31], v[30:31], v[40:41]
	v_fma_f64 v[34:35], v[36:37], s[6:7], v[28:29]
	s_mov_b32 s7, 0x3febb67a
	v_fma_f64 v[28:29], v[36:37], s[6:7], v[28:29]
	v_mov_b32_e32 v36, 3
	v_lshlrev_b32_sdwa v37, v36, v72 dst_sel:DWORD dst_unused:UNUSED_PAD src0_sel:DWORD src1_sel:WORD_0
	v_lshlrev_b32_sdwa v36, v36, v44 dst_sel:DWORD dst_unused:UNUSED_PAD src0_sel:DWORD src1_sel:WORD_0
	v_add3_u32 v36, 0, v37, v36
	ds_write2_b64 v36, v[30:31], v[34:35] offset1:12
	ds_write_b64 v36, v[28:29] offset:192
.LBB0_29:
	s_or_b32 exec_lo, exec_lo, s1
	v_mul_lo_u16 v28, v71, 57
	v_mov_b32_e32 v44, 6
	v_mul_lo_u16 v29, v70, 57
	s_waitcnt lgkmcnt(0)
	s_barrier
	v_lshrrev_b16 v89, 11, v28
	buffer_gl0_inv
	v_lshrrev_b16 v126, 11, v29
	v_mov_b32_e32 v127, 0x7e0
	v_mov_b32_e32 v132, 3
	v_mul_lo_u16 v28, v89, 36
	s_mov_b32 s0, 0x37e14327
	v_mul_lo_u16 v38, v126, 36
	v_mul_u32_u24_sdwa v89, v89, v127 dst_sel:DWORD dst_unused:UNUSED_PAD src0_sel:WORD_0 src1_sel:DWORD
	v_mul_u32_u24_sdwa v133, v126, v127 dst_sel:DWORD dst_unused:UNUSED_PAD src0_sel:WORD_0 src1_sel:DWORD
	v_sub_nc_u16 v130, v90, v28
	s_mov_b32 s16, 0x36b3c0b5
	v_sub_nc_u16 v131, v91, v38
	s_mov_b32 s18, 0xe976ee23
	s_mov_b32 s6, 0x429ad128
	v_mul_u32_u24_sdwa v28, v130, v44 dst_sel:DWORD dst_unused:UNUSED_PAD src0_sel:BYTE_0 src1_sel:DWORD
	s_mov_b32 s1, 0x3fe948f6
	v_mul_u32_u24_sdwa v53, v131, v44 dst_sel:DWORD dst_unused:UNUSED_PAD src0_sel:BYTE_0 src1_sel:DWORD
	s_mov_b32 s17, 0x3fac98ee
	s_mov_b32 s19, 0xbfe11646
	v_lshlrev_b32_e32 v52, 4, v28
	s_mov_b32 s7, 0x3febfeb5
	v_lshlrev_b32_e32 v81, 4, v53
	s_mov_b32 s8, 0xaaaaaaaa
	s_mov_b32 s14, 0x5476071b
	s_clause 0xb
	global_load_dwordx4 v[28:31], v52, s[12:13] offset:544
	global_load_dwordx4 v[34:37], v52, s[12:13] offset:560
	;; [unrolled: 1-line block ×12, first 2 shown]
	ds_read_b64 v[108:109], v95
	ds_read_b64 v[110:111], v92
	;; [unrolled: 1-line block ×4, first 2 shown]
	ds_read2_b64 v[85:88], v32 offset0:114 offset1:240
	ds_read2_b64 v[96:99], v33 offset0:110 offset1:236
	;; [unrolled: 1-line block ×4, first 2 shown]
	ds_read_b64 v[116:117], v93
	ds_read_b64 v[118:119], v92 offset:13104
	s_mov_b32 s22, 0xb247c609
	s_mov_b32 s9, 0xbff2aaaa
	;; [unrolled: 1-line block ×10, first 2 shown]
	s_waitcnt vmcnt(0) lgkmcnt(0)
	s_barrier
	buffer_gl0_inv
	v_mul_f64 v[120:121], v[108:109], v[30:31]
	v_mul_f64 v[30:31], v[26:27], v[30:31]
	v_mul_f64 v[122:123], v[112:113], v[36:37]
	v_mul_f64 v[36:37], v[24:25], v[36:37]
	v_mul_f64 v[124:125], v[114:115], v[40:41]
	v_mul_f64 v[40:41], v[22:23], v[40:41]
	v_mul_f64 v[126:127], v[102:103], v[46:47]
	v_mul_f64 v[46:47], v[10:11], v[46:47]
	v_mul_f64 v[128:129], v[87:88], v[50:51]
	v_mul_f64 v[50:51], v[2:3], v[50:51]
	v_fma_f64 v[26:27], v[26:27], v[28:29], -v[120:121]
	v_mul_f64 v[120:121], v[98:99], v[54:55]
	v_fma_f64 v[28:29], v[108:109], v[28:29], v[30:31]
	v_mul_f64 v[30:31], v[6:7], v[54:55]
	v_mul_f64 v[54:55], v[104:105], v[58:59]
	v_fma_f64 v[24:25], v[24:25], v[34:35], -v[122:123]
	v_mul_f64 v[108:109], v[106:107], v[62:63]
	v_fma_f64 v[34:35], v[112:113], v[34:35], v[36:37]
	v_mul_f64 v[36:37], v[14:15], v[62:63]
	v_mul_f64 v[62:63], v[118:119], v[70:71]
	v_mul_f64 v[112:113], v[100:101], v[74:75]
	v_mul_f64 v[58:59], v[12:13], v[58:59]
	v_fma_f64 v[22:23], v[22:23], v[38:39], -v[124:125]
	v_mul_f64 v[70:71], v[20:21], v[70:71]
	v_fma_f64 v[38:39], v[114:115], v[38:39], v[40:41]
	v_mul_f64 v[40:41], v[85:86], v[78:79]
	v_mul_f64 v[78:79], v[0:1], v[78:79]
	;; [unrolled: 1-line block ×3, first 2 shown]
	v_fma_f64 v[10:11], v[10:11], v[44:45], -v[126:127]
	v_fma_f64 v[44:45], v[102:103], v[44:45], v[46:47]
	v_mul_f64 v[46:47], v[96:97], v[83:84]
	v_mul_f64 v[83:84], v[4:5], v[83:84]
	v_fma_f64 v[2:3], v[2:3], v[48:49], -v[128:129]
	v_fma_f64 v[6:7], v[6:7], v[52:53], -v[120:121]
	v_fma_f64 v[48:49], v[87:88], v[48:49], v[50:51]
	v_fma_f64 v[30:31], v[98:99], v[52:53], v[30:31]
	v_fma_f64 v[12:13], v[12:13], v[56:57], -v[54:55]
	v_lshlrev_b32_sdwa v52, v132, v130 dst_sel:DWORD dst_unused:UNUSED_PAD src0_sel:DWORD src1_sel:BYTE_0
	v_fma_f64 v[14:15], v[14:15], v[60:61], -v[108:109]
	v_lshlrev_b32_sdwa v98, v132, v131 dst_sel:DWORD dst_unused:UNUSED_PAD src0_sel:DWORD src1_sel:BYTE_0
	v_fma_f64 v[36:37], v[106:107], v[60:61], v[36:37]
	v_fma_f64 v[20:21], v[20:21], v[68:69], -v[62:63]
	v_fma_f64 v[8:9], v[8:9], v[72:73], -v[112:113]
	v_add3_u32 v89, 0, v89, v52
	v_fma_f64 v[50:51], v[104:105], v[56:57], v[58:59]
	v_fma_f64 v[52:53], v[118:119], v[68:69], v[70:71]
	v_add3_u32 v102, 0, v133, v98
	v_fma_f64 v[0:1], v[0:1], v[76:77], -v[40:41]
	v_fma_f64 v[40:41], v[85:86], v[76:77], v[78:79]
	v_fma_f64 v[54:55], v[100:101], v[72:73], v[74:75]
	v_add_f64 v[56:57], v[26:27], v[10:11]
	v_add_f64 v[58:59], v[28:29], v[44:45]
	v_fma_f64 v[4:5], v[4:5], v[81:82], -v[46:47]
	v_fma_f64 v[46:47], v[96:97], v[81:82], v[83:84]
	v_add_f64 v[10:11], v[26:27], -v[10:11]
	v_add_f64 v[60:61], v[24:25], v[6:7]
	v_add_f64 v[6:7], v[24:25], -v[6:7]
	v_add_f64 v[62:63], v[34:35], v[30:31]
	v_add_f64 v[24:25], v[22:23], v[2:3]
	v_add_f64 v[30:31], v[34:35], -v[30:31]
	v_add_f64 v[2:3], v[2:3], -v[22:23]
	v_add_f64 v[26:27], v[38:39], v[48:49]
	v_add_f64 v[38:39], v[48:49], -v[38:39]
	v_add_f64 v[22:23], v[12:13], v[20:21]
	v_add_f64 v[34:35], v[14:15], v[8:9]
	v_add_f64 v[28:29], v[28:29], -v[44:45]
	v_add_f64 v[12:13], v[12:13], -v[20:21]
	v_add_f64 v[44:45], v[50:51], v[52:53]
	v_add_f64 v[20:21], v[50:51], -v[52:53]
	v_add_f64 v[8:9], v[14:15], -v[8:9]
	v_add_f64 v[48:49], v[36:37], v[54:55]
	v_add_f64 v[14:15], v[36:37], -v[54:55]
	v_add_f64 v[36:37], v[0:1], v[4:5]
	v_add_f64 v[50:51], v[40:41], v[46:47]
	v_add_f64 v[0:1], v[4:5], -v[0:1]
	v_add_f64 v[4:5], v[46:47], -v[40:41]
	v_add_f64 v[40:41], v[60:61], v[56:57]
	v_add_f64 v[46:47], v[62:63], v[58:59]
	v_add_f64 v[52:53], v[60:61], -v[56:57]
	v_add_f64 v[54:55], v[62:63], -v[58:59]
	;; [unrolled: 1-line block ×6, first 2 shown]
	v_add_f64 v[70:71], v[34:35], v[22:23]
	v_add_f64 v[68:69], v[2:3], v[6:7]
	;; [unrolled: 1-line block ×3, first 2 shown]
	v_add_f64 v[76:77], v[38:39], -v[30:31]
	v_add_f64 v[30:31], v[30:31], -v[28:29]
	;; [unrolled: 1-line block ×4, first 2 shown]
	v_add_f64 v[78:79], v[48:49], v[44:45]
	v_add_f64 v[2:3], v[10:11], -v[2:3]
	v_add_f64 v[38:39], v[28:29], -v[38:39]
	;; [unrolled: 1-line block ×4, first 2 shown]
	v_add_f64 v[85:86], v[0:1], v[8:9]
	v_add_f64 v[96:97], v[4:5], -v[14:15]
	v_add_f64 v[24:25], v[24:25], v[40:41]
	v_add_f64 v[40:41], v[4:5], v[14:15]
	v_add_f64 v[14:15], v[14:15], -v[20:21]
	v_add_f64 v[6:7], v[6:7], -v[10:11]
	;; [unrolled: 1-line block ×6, first 2 shown]
	v_add_f64 v[36:37], v[36:37], v[70:71]
	v_add_f64 v[8:9], v[8:9], -v[12:13]
	v_add_f64 v[26:27], v[26:27], v[46:47]
	v_add_f64 v[10:11], v[68:69], v[10:11]
	;; [unrolled: 1-line block ×3, first 2 shown]
	v_mul_f64 v[46:47], v[56:57], s[0:1]
	v_mul_f64 v[56:57], v[58:59], s[0:1]
	;; [unrolled: 1-line block ×5, first 2 shown]
	v_add_f64 v[50:51], v[50:51], v[78:79]
	v_mul_f64 v[76:77], v[30:31], s[6:7]
	v_add_f64 v[4:5], v[20:21], -v[4:5]
	v_mul_f64 v[22:23], v[22:23], s[0:1]
	v_add_f64 v[16:17], v[16:17], v[24:25]
	v_add_f64 v[20:21], v[40:41], v[20:21]
	v_mul_f64 v[40:41], v[96:97], s[18:19]
	v_mul_f64 v[78:79], v[14:15], s[6:7]
	v_add_f64 v[0:1], v[12:13], -v[0:1]
	v_add_f64 v[12:13], v[85:86], v[12:13]
	v_mul_f64 v[85:86], v[34:35], s[16:17]
	v_mul_f64 v[70:71], v[74:75], s[18:19]
	v_add_f64 v[18:19], v[18:19], v[36:37]
	v_mul_f64 v[74:75], v[6:7], s[6:7]
	v_mul_f64 v[44:45], v[44:45], s[0:1]
	;; [unrolled: 1-line block ×5, first 2 shown]
	v_add_f64 v[100:101], v[110:111], v[26:27]
	v_fma_f64 v[60:61], v[60:61], s[16:17], v[46:47]
	v_fma_f64 v[62:63], v[62:63], s[16:17], v[56:57]
	v_fma_f64 v[58:59], v[52:53], s[14:15], -v[58:59]
	v_fma_f64 v[68:69], v[54:55], s[14:15], -v[68:69]
	;; [unrolled: 1-line block ×4, first 2 shown]
	v_fma_f64 v[54:55], v[38:39], s[22:23], v[72:73]
	v_add_f64 v[56:57], v[116:117], v[50:51]
	v_fma_f64 v[30:31], v[30:31], s[6:7], -v[72:73]
	v_fma_f64 v[38:39], v[38:39], s[24:25], -v[76:77]
	v_fma_f64 v[24:25], v[24:25], s[8:9], v[16:17]
	v_fma_f64 v[34:35], v[34:35], s[16:17], v[22:23]
	;; [unrolled: 1-line block ×3, first 2 shown]
	v_fma_f64 v[14:15], v[14:15], s[6:7], -v[40:41]
	v_fma_f64 v[4:5], v[4:5], s[24:25], -v[78:79]
	v_fma_f64 v[36:37], v[36:37], s[8:9], v[18:19]
	v_fma_f64 v[22:23], v[81:82], s[20:21], -v[22:23]
	v_fma_f64 v[40:41], v[81:82], s[14:15], -v[85:86]
	v_fma_f64 v[72:73], v[2:3], s[22:23], v[70:71]
	;; [unrolled: 3-line block ×3, first 2 shown]
	v_fma_f64 v[70:71], v[83:84], s[14:15], -v[96:97]
	v_fma_f64 v[74:75], v[0:1], s[22:23], v[87:88]
	v_fma_f64 v[26:27], v[26:27], s[8:9], v[100:101]
	v_fma_f64 v[44:45], v[83:84], s[20:21], -v[44:45]
	v_fma_f64 v[8:9], v[8:9], s[6:7], -v[87:88]
	;; [unrolled: 1-line block ×3, first 2 shown]
	v_fma_f64 v[54:55], v[28:29], s[26:27], v[54:55]
	v_fma_f64 v[50:51], v[50:51], s[8:9], v[56:57]
	;; [unrolled: 1-line block ×4, first 2 shown]
	v_add_f64 v[38:39], v[60:61], v[24:25]
	v_add_f64 v[46:47], v[46:47], v[24:25]
	v_add_f64 v[24:25], v[58:59], v[24:25]
	v_fma_f64 v[58:59], v[20:21], s[26:27], v[76:77]
	v_fma_f64 v[14:15], v[20:21], s[26:27], v[14:15]
	;; [unrolled: 1-line block ×3, first 2 shown]
	v_add_f64 v[20:21], v[34:35], v[36:37]
	v_add_f64 v[22:23], v[22:23], v[36:37]
	;; [unrolled: 1-line block ×3, first 2 shown]
	v_fma_f64 v[36:37], v[10:11], s[26:27], v[72:73]
	v_fma_f64 v[6:7], v[10:11], s[26:27], v[6:7]
	;; [unrolled: 1-line block ×4, first 2 shown]
	v_add_f64 v[40:41], v[62:63], v[26:27]
	v_add_f64 v[52:53], v[52:53], v[26:27]
	;; [unrolled: 1-line block ×3, first 2 shown]
	v_fma_f64 v[8:9], v[12:13], s[26:27], v[8:9]
	v_fma_f64 v[0:1], v[12:13], s[26:27], v[0:1]
	v_add_f64 v[12:13], v[48:49], v[50:51]
	v_add_f64 v[48:49], v[70:71], v[50:51]
	;; [unrolled: 1-line block ×5, first 2 shown]
	v_add_f64 v[62:63], v[24:25], -v[30:31]
	v_add_f64 v[24:25], v[30:31], v[24:25]
	v_add_f64 v[28:29], v[46:47], -v[28:29]
	v_add_f64 v[30:31], v[38:39], -v[54:55]
	v_add_f64 v[38:39], v[58:59], v[20:21]
	v_add_f64 v[46:47], v[4:5], v[22:23]
	v_add_f64 v[54:55], v[34:35], -v[14:15]
	v_add_f64 v[14:15], v[14:15], v[34:35]
	v_add_f64 v[4:5], v[22:23], -v[4:5]
	v_add_f64 v[20:21], v[20:21], -v[58:59]
	ds_write2_b64 v89, v[16:17], v[50:51] offset1:36
	ds_write2_b64 v89, v[60:61], v[62:63] offset0:72 offset1:108
	ds_write2_b64 v89, v[24:25], v[28:29] offset0:144 offset1:180
	ds_write_b64 v89, v[30:31] offset:1728
	ds_write2_b64 v102, v[18:19], v[38:39] offset1:36
	ds_write2_b64 v102, v[46:47], v[54:55] offset0:72 offset1:108
	ds_write2_b64 v102, v[14:15], v[4:5] offset0:144 offset1:180
	ds_write_b64 v102, v[20:21] offset:1728
	v_add_f64 v[22:23], v[40:41], -v[36:37]
	v_add_f64 v[34:35], v[52:53], -v[2:3]
	v_add_f64 v[58:59], v[6:7], v[26:27]
	v_add_f64 v[26:27], v[26:27], -v[6:7]
	v_add_f64 v[52:53], v[2:3], v[52:53]
	v_add_f64 v[36:37], v[36:37], v[40:41]
	v_add_f64 v[40:41], v[12:13], -v[10:11]
	v_add_f64 v[81:82], v[44:45], -v[0:1]
	v_add_f64 v[83:84], v[8:9], v[48:49]
	v_add_f64 v[48:49], v[48:49], -v[8:9]
	v_add_f64 v[44:45], v[0:1], v[44:45]
	v_add_f64 v[85:86], v[10:11], v[12:13]
	s_waitcnt lgkmcnt(0)
	s_barrier
	buffer_gl0_inv
	ds_read_b64 v[70:71], v92
	ds_read_b64 v[76:77], v94
	;; [unrolled: 1-line block ×3, first 2 shown]
	ds_read2_b64 v[0:3], v32 offset0:114 offset1:240
	ds_read2_b64 v[4:7], v33 offset0:110 offset1:236
	;; [unrolled: 1-line block ×4, first 2 shown]
	ds_read_b64 v[78:79], v95
	ds_read_b64 v[68:69], v93
	ds_read_b64 v[72:73], v92 offset:13104
	s_waitcnt lgkmcnt(0)
	s_barrier
	buffer_gl0_inv
	ds_write2_b64 v89, v[100:101], v[22:23] offset1:36
	ds_write2_b64 v89, v[34:35], v[58:59] offset0:72 offset1:108
	ds_write2_b64 v89, v[26:27], v[52:53] offset0:144 offset1:180
	ds_write_b64 v89, v[36:37] offset:1728
	ds_write2_b64 v102, v[56:57], v[40:41] offset1:36
	ds_write2_b64 v102, v[81:82], v[83:84] offset0:72 offset1:108
	ds_write2_b64 v102, v[48:49], v[44:45] offset0:144 offset1:180
	ds_write_b64 v102, v[85:86] offset:1728
	s_waitcnt lgkmcnt(0)
	s_barrier
	buffer_gl0_inv
	s_and_saveexec_b32 s28, vcc_lo
	s_cbranch_execz .LBB0_31
; %bb.30:
	v_mul_u32_u24_e32 v16, 6, v90
	v_mul_i32_i24_e32 v28, 6, v91
	v_mov_b32_e32 v29, 0
	v_lshrrev_b32_e32 v83, 2, v90
	v_mul_lo_u32 v81, s5, v66
	v_lshlrev_b32_e32 v16, 4, v16
	v_mul_lo_u32 v82, s4, v67
	v_lshlrev_b64 v[28:29], 4, v[28:29]
	v_add_nc_u32_e32 v88, 0x7e, v90
	v_mad_u64_u32 v[66:67], null, s4, v66, 0
	v_add_co_u32 v30, s28, s12, v16
	v_add_co_ci_u32_e64 v31, null, s13, 0, s28
	v_mul_hi_u32 v83, 0x20820821, v83
	v_add_co_u32 v24, vcc_lo, 0x800, v30
	v_add_co_ci_u32_e32 v25, vcc_lo, 0, v31, vcc_lo
	v_add_co_u32 v26, vcc_lo, 0xfa0, v30
	v_add_co_ci_u32_e32 v27, vcc_lo, 0, v31, vcc_lo
	global_load_dwordx4 v[16:19], v[24:25], off offset:1952
	v_add_co_u32 v30, vcc_lo, 0xfe0, v30
	global_load_dwordx4 v[20:23], v[26:27], off offset:16
	v_add_co_ci_u32_e32 v31, vcc_lo, 0, v31, vcc_lo
	s_clause 0x2
	global_load_dwordx4 v[52:55], v[26:27], off offset:32
	global_load_dwordx4 v[60:63], v[30:31], off offset:16
	;; [unrolled: 1-line block ×3, first 2 shown]
	v_add_co_u32 v28, vcc_lo, s12, v28
	v_add_co_ci_u32_e32 v29, vcc_lo, s13, v29, vcc_lo
	global_load_dwordx4 v[48:51], v[26:27], off offset:48
	v_add_co_u32 v44, vcc_lo, 0x800, v28
	v_add_co_ci_u32_e32 v45, vcc_lo, 0, v29, vcc_lo
	v_add_co_u32 v24, vcc_lo, 0xfe0, v28
	v_add_co_ci_u32_e32 v25, vcc_lo, 0, v29, vcc_lo
	;; [unrolled: 2-line block ×3, first 2 shown]
	s_clause 0x5
	global_load_dwordx4 v[28:31], v[44:45], off offset:1952
	global_load_dwordx4 v[40:43], v[24:25], off offset:16
	;; [unrolled: 1-line block ×6, first 2 shown]
	v_lshrrev_b32_e32 v84, 2, v88
	v_add_nc_u32_e32 v89, 0x2000, v92
	ds_read_b64 v[95:96], v95
	ds_read_b64 v[97:98], v80
	ds_read_b64 v[99:100], v94
	v_add3_u32 v67, v67, v82, v81
	v_lshrrev_b32_e32 v80, 3, v83
	v_mul_hi_u32 v94, 0x20820821, v84
	v_add_nc_u32_e32 v91, 0x2800, v92
	v_lshlrev_b64 v[84:85], 4, v[64:65]
	v_lshlrev_b64 v[86:87], 4, v[66:67]
	ds_read2_b64 v[64:67], v89 offset0:110 offset1:236
	v_mul_lo_u32 v89, 0xfc, v80
	ds_read2_b64 v[80:83], v91 offset0:106 offset1:232
	v_add_nc_u32_e32 v138, 0xbc0, v92
	v_lshrrev_b32_e32 v91, 3, v94
	v_add_co_u32 v86, vcc_lo, s10, v86
	v_add_co_ci_u32_e32 v87, vcc_lo, s11, v87, vcc_lo
	v_sub_nc_u32_e32 v111, v90, v89
	v_mul_lo_u32 v94, 0xfc, v91
	v_add_co_u32 v139, vcc_lo, v86, v84
	v_add_co_ci_u32_e32 v140, vcc_lo, v87, v85, vcc_lo
	v_add_nc_u32_e32 v112, 0xfc, v111
	v_add_nc_u32_e32 v114, 0x1f8, v111
	;; [unrolled: 1-line block ×4, first 2 shown]
	v_sub_nc_u32_e32 v86, v88, v94
	v_mad_u64_u32 v[87:88], null, s2, v112, 0
	v_mad_u64_u32 v[84:85], null, s2, v111, 0
	v_add_nc_u32_e32 v117, 0x4ec, v111
	v_add_nc_u32_e32 v118, 0x5e8, v111
	v_mad_u64_u32 v[89:90], null, s2, v114, 0
	v_mad_u64_u32 v[101:102], null, s2, v115, 0
	v_mad_u64_u32 v[103:104], null, s2, v116, 0
	v_mad_u64_u32 v[105:106], null, s2, v117, 0
	v_mad_u64_u32 v[107:108], null, s2, v118, 0
	v_mad_u64_u32 v[109:110], null, 0x6e4, v91, v[86:87]
	v_mad_u64_u32 v[85:86], null, s3, v111, v[85:86]
	v_mov_b32_e32 v86, v88
	v_mov_b32_e32 v88, v90
	;; [unrolled: 1-line block ×6, first 2 shown]
	v_mad_u64_u32 v[112:113], null, s3, v112, v[86:87]
	v_mad_u64_u32 v[110:111], null, s2, v109, 0
	v_add_nc_u32_e32 v128, 0xfc, v109
	v_mad_u64_u32 v[113:114], null, s3, v114, v[88:89]
	v_mad_u64_u32 v[114:115], null, s3, v115, v[90:91]
	;; [unrolled: 1-line block ×3, first 2 shown]
	s_waitcnt lgkmcnt(4)
	v_mad_u64_u32 v[116:117], null, s3, v117, v[94:95]
	v_add_nc_u32_e32 v130, 0x2f4, v109
	v_mad_u64_u32 v[117:118], null, s3, v118, v[102:103]
	v_add_nc_u32_e32 v129, 0x1f8, v109
	v_add_nc_u32_e32 v131, 0x3f0, v109
	v_mad_u64_u32 v[118:119], null, s2, v128, 0
	v_add_nc_u32_e32 v132, 0x4ec, v109
	v_mov_b32_e32 v86, v111
	v_mad_u64_u32 v[122:123], null, s2, v130, 0
	v_mad_u64_u32 v[120:121], null, s2, v129, 0
	;; [unrolled: 1-line block ×4, first 2 shown]
	v_mov_b32_e32 v88, v112
	v_mov_b32_e32 v102, v114
	;; [unrolled: 1-line block ×3, first 2 shown]
	v_mad_u64_u32 v[114:115], null, s3, v109, v[86:87]
	v_mov_b32_e32 v86, v119
	v_mov_b32_e32 v94, v123
	v_add_nc_u32_e32 v136, 0x5e8, v109
	v_mov_b32_e32 v106, v116
	v_mov_b32_e32 v91, v121
	;; [unrolled: 1-line block ×3, first 2 shown]
	v_mad_u64_u32 v[115:116], null, s3, v128, v[86:87]
	v_lshlrev_b64 v[87:88], 4, v[87:88]
	v_lshlrev_b64 v[84:85], 4, v[84:85]
	v_mov_b32_e32 v86, v127
	v_mov_b32_e32 v90, v113
	v_mad_u64_u32 v[127:128], null, s3, v130, v[94:95]
	v_mov_b32_e32 v108, v117
	v_mad_u64_u32 v[116:117], null, s3, v129, v[91:92]
	v_mad_u64_u32 v[128:129], null, s3, v131, v[109:110]
	;; [unrolled: 1-line block ×3, first 2 shown]
	v_lshlrev_b64 v[89:90], 4, v[89:90]
	v_add_co_u32 v130, vcc_lo, v139, v84
	v_add_co_ci_u32_e32 v131, vcc_lo, v140, v85, vcc_lo
	v_add_co_u32 v132, vcc_lo, v139, v87
	v_add_co_ci_u32_e32 v133, vcc_lo, v140, v88, vcc_lo
	v_add_co_u32 v134, vcc_lo, v139, v89
	v_mad_u64_u32 v[112:113], null, s2, v136, 0
	v_mov_b32_e32 v111, v114
	v_mov_b32_e32 v119, v115
	v_add_co_ci_u32_e32 v135, vcc_lo, v140, v90, vcc_lo
	v_lshlrev_b64 v[101:102], 4, v[101:102]
	v_mov_b32_e32 v121, v116
	v_mov_b32_e32 v84, v113
	v_lshlrev_b64 v[103:104], 4, v[103:104]
	v_lshlrev_b64 v[105:106], 4, v[105:106]
	;; [unrolled: 1-line block ×3, first 2 shown]
	v_add_co_u32 v101, vcc_lo, v139, v101
	v_mad_u64_u32 v[90:91], null, s3, v136, v[84:85]
	v_add_nc_u32_e32 v91, 0x1800, v92
	ds_read_b64 v[116:117], v92 offset:13104
	ds_read_b64 v[136:137], v92
	ds_read2_b64 v[84:87], v138 offset0:2 offset1:254
	v_add_co_ci_u32_e32 v102, vcc_lo, v140, v102, vcc_lo
	v_add_co_u32 v103, vcc_lo, v139, v103
	v_mov_b32_e32 v113, v90
	v_add_co_ci_u32_e32 v104, vcc_lo, v140, v104, vcc_lo
	v_add_co_u32 v105, vcc_lo, v139, v105
	v_lshlrev_b64 v[109:110], 4, v[110:111]
	v_add_co_ci_u32_e32 v106, vcc_lo, v140, v106, vcc_lo
	v_add_co_u32 v107, vcc_lo, v139, v107
	v_add_co_ci_u32_e32 v108, vcc_lo, v140, v108, vcc_lo
	ds_read_b64 v[92:93], v93
	v_lshlrev_b64 v[118:119], 4, v[118:119]
	v_mov_b32_e32 v123, v127
	v_lshlrev_b64 v[111:112], 4, v[112:113]
	v_mov_b32_e32 v125, v128
	v_mov_b32_e32 v127, v129
	s_waitcnt vmcnt(11)
	v_mul_f64 v[88:89], v[95:96], v[18:19]
	v_mul_f64 v[18:19], v[78:79], v[18:19]
	s_waitcnt vmcnt(10) lgkmcnt(6)
	v_mul_f64 v[114:115], v[99:100], v[22:23]
	v_mul_f64 v[22:23], v[76:77], v[22:23]
	v_fma_f64 v[78:79], v[78:79], v[16:17], -v[88:89]
	ds_read2_b64 v[88:91], v91 offset0:114 offset1:240
	v_fma_f64 v[16:17], v[16:17], v[95:96], v[18:19]
	s_waitcnt vmcnt(9)
	v_mul_f64 v[18:19], v[97:98], v[54:55]
	v_mul_f64 v[54:55], v[74:75], v[54:55]
	v_fma_f64 v[76:77], v[76:77], v[20:21], -v[114:115]
	s_waitcnt vmcnt(7) lgkmcnt(6)
	v_mul_f64 v[114:115], v[66:67], v[58:59]
	v_fma_f64 v[20:21], v[20:21], v[99:100], v[22:23]
	v_mul_f64 v[22:23], v[10:11], v[62:63]
	v_mul_f64 v[58:59], v[6:7], v[58:59]
	v_lshlrev_b64 v[94:95], 4, v[120:121]
	s_waitcnt lgkmcnt(5)
	v_mul_f64 v[120:121], v[82:83], v[62:63]
	v_add_co_u32 v62, vcc_lo, v139, v109
	v_add_co_ci_u32_e32 v63, vcc_lo, v140, v110, vcc_lo
	v_add_co_u32 v99, vcc_lo, v139, v118
	v_add_co_ci_u32_e32 v100, vcc_lo, v140, v119, vcc_lo
	v_add_co_u32 v94, vcc_lo, v139, v94
	s_waitcnt vmcnt(6) lgkmcnt(0)
	v_mul_f64 v[109:110], v[90:91], v[50:51]
	v_mul_f64 v[50:51], v[2:3], v[50:51]
	v_add_co_ci_u32_e32 v95, vcc_lo, v140, v95, vcc_lo
	v_fma_f64 v[18:19], v[74:75], v[52:53], -v[18:19]
	v_fma_f64 v[52:53], v[52:53], v[97:98], v[54:55]
	s_waitcnt vmcnt(5)
	v_mul_f64 v[54:55], v[84:85], v[30:31]
	s_waitcnt vmcnt(4)
	v_mul_f64 v[74:75], v[42:43], v[116:117]
	v_fma_f64 v[22:23], v[60:61], v[82:83], v[22:23]
	s_waitcnt vmcnt(1)
	v_mul_f64 v[82:83], v[86:87], v[38:39]
	v_fma_f64 v[6:7], v[6:7], v[56:57], -v[114:115]
	v_fma_f64 v[56:57], v[56:57], v[66:67], v[58:59]
	s_waitcnt vmcnt(0)
	v_mul_f64 v[58:59], v[46:47], v[80:81]
	v_mul_f64 v[66:67], v[40:41], v[116:117]
	;; [unrolled: 1-line block ×6, first 2 shown]
	v_fma_f64 v[10:11], v[10:11], v[60:61], -v[120:121]
	v_mul_f64 v[60:61], v[34:35], v[88:89]
	v_mul_f64 v[64:65], v[24:25], v[64:65]
	;; [unrolled: 1-line block ×3, first 2 shown]
	v_fma_f64 v[2:3], v[2:3], v[48:49], -v[109:110]
	v_fma_f64 v[48:49], v[48:49], v[90:91], v[50:51]
	v_lshlrev_b64 v[114:115], 4, v[122:123]
	v_lshlrev_b64 v[109:110], 4, v[124:125]
	;; [unrolled: 1-line block ×3, first 2 shown]
	v_fma_f64 v[12:13], v[12:13], v[28:29], -v[54:55]
	v_fma_f64 v[40:41], v[72:73], v[40:41], -v[74:75]
	;; [unrolled: 1-line block ×4, first 2 shown]
	v_fma_f64 v[42:43], v[72:73], v[42:43], v[66:67]
	v_fma_f64 v[28:29], v[28:29], v[84:85], v[30:31]
	;; [unrolled: 1-line block ×4, first 2 shown]
	v_fma_f64 v[24:25], v[4:5], v[24:25], -v[96:97]
	v_add_f64 v[36:37], v[76:77], -v[6:7]
	v_fma_f64 v[32:33], v[0:1], v[32:33], -v[60:61]
	v_fma_f64 v[4:5], v[4:5], v[26:27], v[64:65]
	v_fma_f64 v[0:1], v[0:1], v[34:35], v[88:89]
	v_add_f64 v[26:27], v[78:79], -v[10:11]
	v_add_f64 v[34:35], v[2:3], -v[18:19]
	v_add_f64 v[38:39], v[16:17], v[22:23]
	v_add_f64 v[46:47], v[20:21], v[56:57]
	;; [unrolled: 1-line block ×6, first 2 shown]
	v_add_f64 v[16:17], v[16:17], -v[22:23]
	v_add_f64 v[18:19], v[48:49], -v[52:53]
	;; [unrolled: 1-line block ×5, first 2 shown]
	v_add_f64 v[12:13], v[12:13], v[40:41]
	v_add_f64 v[54:55], v[28:29], v[42:43]
	;; [unrolled: 1-line block ×4, first 2 shown]
	v_add_f64 v[28:29], v[28:29], -v[42:43]
	v_add_co_u32 v58, vcc_lo, v139, v114
	v_add_f64 v[48:49], v[24:25], -v[32:33]
	v_add_f64 v[60:61], v[4:5], v[0:1]
	v_add_f64 v[24:25], v[24:25], v[32:33]
	v_add_f64 v[0:1], v[4:5], -v[0:1]
	v_add_f64 v[4:5], v[30:31], -v[8:9]
	;; [unrolled: 1-line block ×4, first 2 shown]
	v_add_f64 v[32:33], v[34:35], v[36:37]
	v_add_f64 v[34:35], v[38:39], v[46:47]
	v_add_f64 v[44:45], v[10:11], v[6:7]
	v_add_f64 v[40:41], v[38:39], -v[50:51]
	v_add_f64 v[36:37], v[36:37], -v[26:27]
	;; [unrolled: 1-line block ×7, first 2 shown]
	v_add_f64 v[80:81], v[12:13], v[14:15]
	v_add_f64 v[76:77], v[54:55], v[56:57]
	;; [unrolled: 1-line block ×3, first 2 shown]
	v_add_f64 v[20:21], v[20:21], -v[16:17]
	v_add_f64 v[38:39], v[46:47], -v[38:39]
	;; [unrolled: 1-line block ×5, first 2 shown]
	v_add_f64 v[48:49], v[48:49], v[52:53]
	v_add_f64 v[78:79], v[54:55], -v[60:61]
	v_add_f64 v[82:83], v[60:61], -v[56:57]
	v_add_f64 v[84:85], v[12:13], -v[24:25]
	v_add_f64 v[86:87], v[24:25], -v[14:15]
	v_add_f64 v[34:35], v[50:51], v[34:35]
	v_add_f64 v[44:45], v[2:3], v[44:45]
	v_add_f64 v[90:91], v[0:1], -v[4:5]
	v_add_f64 v[96:97], v[0:1], v[4:5]
	v_add_f64 v[50:51], v[52:53], -v[22:23]
	v_add_f64 v[52:53], v[56:57], -v[54:55]
	;; [unrolled: 1-line block ×4, first 2 shown]
	v_mul_f64 v[30:31], v[30:31], s[18:19]
	v_mul_f64 v[4:5], v[40:41], s[0:1]
	v_add_f64 v[56:57], v[60:61], v[76:77]
	v_mul_f64 v[60:61], v[36:37], s[6:7]
	v_add_f64 v[24:25], v[24:25], v[80:81]
	v_add_f64 v[88:89], v[28:29], -v[0:1]
	v_add_f64 v[26:27], v[26:27], v[32:33]
	v_mul_f64 v[32:33], v[42:43], s[16:17]
	v_mul_f64 v[42:43], v[66:67], s[16:17]
	;; [unrolled: 1-line block ×4, first 2 shown]
	v_add_f64 v[16:17], v[16:17], v[18:19]
	v_mul_f64 v[18:19], v[20:21], s[6:7]
	v_mul_f64 v[74:75], v[6:7], s[18:19]
	v_add_f64 v[2:3], v[136:137], v[34:35]
	v_add_f64 v[0:1], v[70:71], v[44:45]
	;; [unrolled: 1-line block ×3, first 2 shown]
	v_mul_f64 v[48:49], v[78:79], s[0:1]
	v_mul_f64 v[76:77], v[82:83], s[16:17]
	;; [unrolled: 1-line block ×4, first 2 shown]
	v_add_f64 v[28:29], v[28:29], v[96:97]
	v_mul_f64 v[86:87], v[50:51], s[6:7]
	v_fma_f64 v[96:97], v[8:9], s[22:23], v[30:31]
	v_add_f64 v[6:7], v[92:93], v[56:57]
	v_fma_f64 v[8:9], v[8:9], s[24:25], -v[60:61]
	v_fma_f64 v[60:61], v[38:39], s[20:21], -v[4:5]
	v_add_f64 v[4:5], v[68:69], v[24:25]
	v_mul_f64 v[70:71], v[84:85], s[0:1]
	v_mul_f64 v[90:91], v[14:15], s[6:7]
	v_fma_f64 v[40:41], v[40:41], s[0:1], v[32:33]
	v_fma_f64 v[64:65], v[64:65], s[0:1], v[42:43]
	;; [unrolled: 1-line block ×3, first 2 shown]
	v_fma_f64 v[30:31], v[36:37], s[6:7], -v[30:31]
	v_fma_f64 v[66:67], v[10:11], s[20:21], -v[66:67]
	;; [unrolled: 1-line block ×3, first 2 shown]
	v_fma_f64 v[34:35], v[34:35], s[8:9], v[2:3]
	v_fma_f64 v[36:37], v[44:45], s[8:9], v[0:1]
	v_fma_f64 v[32:33], v[38:39], s[14:15], -v[32:33]
	v_fma_f64 v[10:11], v[10:11], s[14:15], -v[42:43]
	;; [unrolled: 1-line block ×3, first 2 shown]
	v_fma_f64 v[38:39], v[46:47], s[22:23], v[74:75]
	v_fma_f64 v[42:43], v[78:79], s[0:1], v[76:77]
	;; [unrolled: 1-line block ×4, first 2 shown]
	v_fma_f64 v[46:47], v[46:47], s[24:25], -v[86:87]
	v_fma_f64 v[48:49], v[52:53], s[20:21], -v[48:49]
	;; [unrolled: 1-line block ×3, first 2 shown]
	v_fma_f64 v[56:57], v[56:57], s[8:9], v[6:7]
	v_fma_f64 v[52:53], v[52:53], s[14:15], -v[76:77]
	v_fma_f64 v[24:25], v[24:25], s[8:9], v[4:5]
	v_fma_f64 v[68:69], v[12:13], s[20:21], -v[70:71]
	v_fma_f64 v[70:71], v[88:89], s[24:25], -v[90:91]
	v_fma_f64 v[14:15], v[14:15], s[6:7], -v[82:83]
	v_fma_f64 v[12:13], v[12:13], s[14:15], -v[80:81]
	v_fma_f64 v[72:73], v[26:27], s[26:27], v[96:97]
	v_fma_f64 v[74:75], v[16:17], s[26:27], v[113:114]
	v_fma_f64 v[76:77], v[26:27], s[26:27], v[8:9]
	v_fma_f64 v[26:27], v[26:27], s[26:27], v[30:31]
	v_add_f64 v[30:31], v[40:41], v[34:35]
	v_add_f64 v[40:41], v[64:65], v[36:37]
	v_fma_f64 v[78:79], v[16:17], s[26:27], v[18:19]
	v_add_f64 v[60:61], v[60:61], v[34:35]
	v_add_f64 v[64:65], v[66:67], v[36:37]
	;; [unrolled: 1-line block ×3, first 2 shown]
	v_fma_f64 v[20:21], v[16:17], s[26:27], v[20:21]
	v_add_f64 v[34:35], v[10:11], v[36:37]
	v_fma_f64 v[36:37], v[22:23], s[26:27], v[38:39]
	v_fma_f64 v[66:67], v[28:29], s[26:27], v[54:55]
	;; [unrolled: 1-line block ×4, first 2 shown]
	v_add_f64 v[82:83], v[42:43], v[56:57]
	v_add_f64 v[48:49], v[48:49], v[56:57]
	;; [unrolled: 1-line block ×4, first 2 shown]
	v_fma_f64 v[70:71], v[28:29], s[26:27], v[70:71]
	v_add_f64 v[68:69], v[68:69], v[24:25]
	v_fma_f64 v[80:81], v[28:29], s[26:27], v[14:15]
	v_add_f64 v[84:85], v[12:13], v[24:25]
	v_add_co_ci_u32_e32 v59, vcc_lo, v140, v115, vcc_lo
	v_add_f64 v[10:11], v[72:73], v[30:31]
	v_add_f64 v[30:31], v[30:31], -v[72:73]
	v_add_f64 v[28:29], v[74:75], v[40:41]
	v_add_f64 v[14:15], v[76:77], v[60:61]
	;; [unrolled: 1-line block ×3, first 2 shown]
	v_add_f64 v[18:19], v[32:33], -v[26:27]
	v_add_f64 v[22:23], v[26:27], v[32:33]
	v_add_f64 v[26:27], v[60:61], -v[76:77]
	v_add_f64 v[16:17], v[20:21], v[34:35]
	v_add_f64 v[20:21], v[34:35], -v[20:21]
	v_add_f64 v[12:13], v[64:65], -v[78:79]
	v_add_f64 v[8:9], v[40:41], -v[74:75]
	v_add_f64 v[34:35], v[36:37], v[82:83]
	v_add_f64 v[38:39], v[54:55], v[48:49]
	v_add_f64 v[42:43], v[50:51], -v[46:47]
	v_add_f64 v[46:47], v[46:47], v[50:51]
	v_add_f64 v[50:51], v[48:49], -v[54:55]
	v_add_f64 v[54:55], v[82:83], -v[36:37]
	v_add_f64 v[52:53], v[66:67], v[56:57]
	v_add_f64 v[48:49], v[70:71], v[68:69]
	v_add_f64 v[44:45], v[84:85], -v[80:81]
	v_add_f64 v[40:41], v[80:81], v[84:85]
	v_add_f64 v[36:37], v[68:69], -v[70:71]
	v_add_f64 v[32:33], v[56:57], -v[66:67]
	v_add_co_u32 v86, vcc_lo, v139, v109
	v_add_co_ci_u32_e32 v87, vcc_lo, v140, v110, vcc_lo
	v_add_co_u32 v56, vcc_lo, v139, v116
	v_add_co_ci_u32_e32 v57, vcc_lo, v140, v117, vcc_lo
	;; [unrolled: 2-line block ×3, first 2 shown]
	global_store_dwordx4 v[130:131], v[0:3], off
	global_store_dwordx4 v[132:133], v[28:31], off
	;; [unrolled: 1-line block ×14, first 2 shown]
.LBB0_31:
	s_endpgm
	.section	.rodata,"a",@progbits
	.p2align	6, 0x0
	.amdhsa_kernel fft_rtc_fwd_len1764_factors_2_2_3_3_7_7_wgs_126_tpt_126_halfLds_dp_op_CI_CI_sbrr_dirReg
		.amdhsa_group_segment_fixed_size 0
		.amdhsa_private_segment_fixed_size 0
		.amdhsa_kernarg_size 104
		.amdhsa_user_sgpr_count 6
		.amdhsa_user_sgpr_private_segment_buffer 1
		.amdhsa_user_sgpr_dispatch_ptr 0
		.amdhsa_user_sgpr_queue_ptr 0
		.amdhsa_user_sgpr_kernarg_segment_ptr 1
		.amdhsa_user_sgpr_dispatch_id 0
		.amdhsa_user_sgpr_flat_scratch_init 0
		.amdhsa_user_sgpr_private_segment_size 0
		.amdhsa_wavefront_size32 1
		.amdhsa_uses_dynamic_stack 0
		.amdhsa_system_sgpr_private_segment_wavefront_offset 0
		.amdhsa_system_sgpr_workgroup_id_x 1
		.amdhsa_system_sgpr_workgroup_id_y 0
		.amdhsa_system_sgpr_workgroup_id_z 0
		.amdhsa_system_sgpr_workgroup_info 0
		.amdhsa_system_vgpr_workitem_id 0
		.amdhsa_next_free_vgpr 141
		.amdhsa_next_free_sgpr 31
		.amdhsa_reserve_vcc 1
		.amdhsa_reserve_flat_scratch 0
		.amdhsa_float_round_mode_32 0
		.amdhsa_float_round_mode_16_64 0
		.amdhsa_float_denorm_mode_32 3
		.amdhsa_float_denorm_mode_16_64 3
		.amdhsa_dx10_clamp 1
		.amdhsa_ieee_mode 1
		.amdhsa_fp16_overflow 0
		.amdhsa_workgroup_processor_mode 1
		.amdhsa_memory_ordered 1
		.amdhsa_forward_progress 0
		.amdhsa_shared_vgpr_count 0
		.amdhsa_exception_fp_ieee_invalid_op 0
		.amdhsa_exception_fp_denorm_src 0
		.amdhsa_exception_fp_ieee_div_zero 0
		.amdhsa_exception_fp_ieee_overflow 0
		.amdhsa_exception_fp_ieee_underflow 0
		.amdhsa_exception_fp_ieee_inexact 0
		.amdhsa_exception_int_div_zero 0
	.end_amdhsa_kernel
	.text
.Lfunc_end0:
	.size	fft_rtc_fwd_len1764_factors_2_2_3_3_7_7_wgs_126_tpt_126_halfLds_dp_op_CI_CI_sbrr_dirReg, .Lfunc_end0-fft_rtc_fwd_len1764_factors_2_2_3_3_7_7_wgs_126_tpt_126_halfLds_dp_op_CI_CI_sbrr_dirReg
                                        ; -- End function
	.section	.AMDGPU.csdata,"",@progbits
; Kernel info:
; codeLenInByte = 12996
; NumSgprs: 33
; NumVgprs: 141
; ScratchSize: 0
; MemoryBound: 1
; FloatMode: 240
; IeeeMode: 1
; LDSByteSize: 0 bytes/workgroup (compile time only)
; SGPRBlocks: 4
; VGPRBlocks: 17
; NumSGPRsForWavesPerEU: 33
; NumVGPRsForWavesPerEU: 141
; Occupancy: 7
; WaveLimiterHint : 1
; COMPUTE_PGM_RSRC2:SCRATCH_EN: 0
; COMPUTE_PGM_RSRC2:USER_SGPR: 6
; COMPUTE_PGM_RSRC2:TRAP_HANDLER: 0
; COMPUTE_PGM_RSRC2:TGID_X_EN: 1
; COMPUTE_PGM_RSRC2:TGID_Y_EN: 0
; COMPUTE_PGM_RSRC2:TGID_Z_EN: 0
; COMPUTE_PGM_RSRC2:TIDIG_COMP_CNT: 0
	.text
	.p2alignl 6, 3214868480
	.fill 48, 4, 3214868480
	.type	__hip_cuid_6483c47e2740ac0e,@object ; @__hip_cuid_6483c47e2740ac0e
	.section	.bss,"aw",@nobits
	.globl	__hip_cuid_6483c47e2740ac0e
__hip_cuid_6483c47e2740ac0e:
	.byte	0                               ; 0x0
	.size	__hip_cuid_6483c47e2740ac0e, 1

	.ident	"AMD clang version 19.0.0git (https://github.com/RadeonOpenCompute/llvm-project roc-6.4.0 25133 c7fe45cf4b819c5991fe208aaa96edf142730f1d)"
	.section	".note.GNU-stack","",@progbits
	.addrsig
	.addrsig_sym __hip_cuid_6483c47e2740ac0e
	.amdgpu_metadata
---
amdhsa.kernels:
  - .args:
      - .actual_access:  read_only
        .address_space:  global
        .offset:         0
        .size:           8
        .value_kind:     global_buffer
      - .offset:         8
        .size:           8
        .value_kind:     by_value
      - .actual_access:  read_only
        .address_space:  global
        .offset:         16
        .size:           8
        .value_kind:     global_buffer
      - .actual_access:  read_only
        .address_space:  global
        .offset:         24
        .size:           8
        .value_kind:     global_buffer
      - .actual_access:  read_only
        .address_space:  global
        .offset:         32
        .size:           8
        .value_kind:     global_buffer
      - .offset:         40
        .size:           8
        .value_kind:     by_value
      - .actual_access:  read_only
        .address_space:  global
        .offset:         48
        .size:           8
        .value_kind:     global_buffer
      - .actual_access:  read_only
        .address_space:  global
        .offset:         56
        .size:           8
        .value_kind:     global_buffer
      - .offset:         64
        .size:           4
        .value_kind:     by_value
      - .actual_access:  read_only
        .address_space:  global
        .offset:         72
        .size:           8
        .value_kind:     global_buffer
      - .actual_access:  read_only
        .address_space:  global
        .offset:         80
        .size:           8
        .value_kind:     global_buffer
      - .actual_access:  read_only
        .address_space:  global
        .offset:         88
        .size:           8
        .value_kind:     global_buffer
      - .actual_access:  write_only
        .address_space:  global
        .offset:         96
        .size:           8
        .value_kind:     global_buffer
    .group_segment_fixed_size: 0
    .kernarg_segment_align: 8
    .kernarg_segment_size: 104
    .language:       OpenCL C
    .language_version:
      - 2
      - 0
    .max_flat_workgroup_size: 126
    .name:           fft_rtc_fwd_len1764_factors_2_2_3_3_7_7_wgs_126_tpt_126_halfLds_dp_op_CI_CI_sbrr_dirReg
    .private_segment_fixed_size: 0
    .sgpr_count:     33
    .sgpr_spill_count: 0
    .symbol:         fft_rtc_fwd_len1764_factors_2_2_3_3_7_7_wgs_126_tpt_126_halfLds_dp_op_CI_CI_sbrr_dirReg.kd
    .uniform_work_group_size: 1
    .uses_dynamic_stack: false
    .vgpr_count:     141
    .vgpr_spill_count: 0
    .wavefront_size: 32
    .workgroup_processor_mode: 1
amdhsa.target:   amdgcn-amd-amdhsa--gfx1030
amdhsa.version:
  - 1
  - 2
...

	.end_amdgpu_metadata
